;; amdgpu-corpus repo=ROCm/aiter kind=harvested arch=n/a opt=n/a

/root/src/amdgpu-assembly/repos/ROCm__aiter/hsa/gfx950/f4gemm/f4gemm_bf16_per1x32Fp4_BpreShuffle_128x384.co:	file format elf64-amdgpu

Disassembly of section .text:

0000000000002c00 <_ZN5aiter42f4gemm_bf16_per1x32Fp4_BpreShuffle_128x384E>:
	s_and_b32 s1, s1, 0xffff                                   // 000000002C00: 8601FF01 0000FFFF
	s_load_dwordx2 s[4:5], s[0:1], 0x0                         // 000000002C08: C0060100 00000000
	s_load_dwordx2 s[8:9], s[0:1], 0x10                        // 000000002C10: C0060200 00000010
	s_load_dwordx2 s[12:13], s[0:1], 0x20                      // 000000002C18: C0060300 00000020
	s_load_dwordx2 s[16:17], s[0:1], 0x30                      // 000000002C20: C0060400 00000030
	s_load_dword s41, s[0:1], 0x40                             // 000000002C28: C0020A40 00000040
	s_load_dword s42, s[0:1], 0x50                             // 000000002C30: C0020A80 00000050
	s_load_dword s36, s[0:1], 0x80                             // 000000002C38: C0020900 00000080
	s_load_dword s37, s[0:1], 0xa0                             // 000000002C40: C0020940 000000A0
	s_load_dword s38, s[0:1], 0xc0                             // 000000002C48: C0020980 000000C0
	s_load_dword s43, s[0:1], 0xe0                             // 000000002C50: C0020AC0 000000E0
	s_load_dword s44, s[0:1], 0xf0                             // 000000002C58: C0020B00 000000F0
	s_load_dword s45, s[0:1], 0x100                            // 000000002C60: C0020B40 00000100
	s_load_dwordx2 s[20:21], s[0:1], 0x110                     // 000000002C68: C0060500 00000110
	s_load_dwordx2 s[24:25], s[0:1], 0x120                     // 000000002C70: C0060600 00000120
	s_load_dword s39, s[0:1], 0x130                            // 000000002C78: C00209C0 00000130
	s_load_dword s40, s[0:1], 0x150                            // 000000002C80: C0020A00 00000150
	v_lshrrev_b32_e32 v1, 10, v0                               // 000000002C88: 2002008A
	v_lshrrev_b32_e32 v2, 10, v1                               // 000000002C8C: 2004028A
	v_and_b32_e32 v2, 0x3ff, v2                                // 000000002C90: 260404FF 000003FF
	v_and_b32_e32 v1, 0x3ff, v1                                // 000000002C98: 260202FF 000003FF
	v_and_b32_e32 v0, 0x3ff, v0                                // 000000002CA0: 260000FF 000003FF
	v_lshrrev_b32_e32 v3, 6, v0                                // 000000002CA8: 20060086
	v_and_b32_e32 v0, 63, v0                                   // 000000002CAC: 260000BF
	s_mov_b32 s47, s2                                          // 000000002CB0: BEAF0002
	s_mov_b32 s48, s3                                          // 000000002CB4: BEB00003
	v_readfirstlane_b32 s46, v3                                // 000000002CB8: 7E5C0503
	s_waitcnt lgkmcnt(0)                                       // 000000002CBC: BF8CC07F
	s_add_u32 s51, s44, 0x17f                                  // 000000002CC0: 8033FF2C 0000017F
	s_mov_b32 s63, 0x180                                       // 000000002CC8: BEBF00FF 00000180
	v_cvt_f32_u32_e32 v4, s63                                  // 000000002CD0: 7E080C3F
	s_sub_i32 s50, 0, s63                                      // 000000002CD4: 81B23F80
	v_rcp_iflag_f32_e32 v4, v4                                 // 000000002CD8: 7E084704
	s_nop 0                                                    // 000000002CDC: BF800000
	v_mul_f32_e32 v4, 0x4f7ffffe, v4                           // 000000002CE0: 0A0808FF 4F7FFFFE
	v_cvt_u32_f32_e32 v4, v4                                   // 000000002CE8: 7E080F04
	v_mul_lo_u32 v5, s50, v4                                   // 000000002CEC: D2850005 00020832
	v_mul_hi_u32 v5, v4, v5                                    // 000000002CF4: D2860005 00020B04
	v_add_u32_e32 v4, v4, v5                                   // 000000002CFC: 68080B04
	v_mul_hi_u32 v4, s51, v4                                   // 000000002D00: D2860004 00020833
	v_mul_lo_u32 v5, v4, s63                                   // 000000002D08: D2850005 00007F04
	v_sub_u32_e32 v7, s51, v5                                  // 000000002D10: 6A0E0A33
	v_add_u32_e32 v6, 1, v4                                    // 000000002D14: 680C0881
	v_cmp_le_u32_e32 vcc, s63, v7                              // 000000002D18: 7D960E3F
	v_subrev_u32_e32 v5, s63, v7                               // 000000002D1C: 6C0A0E3F
	s_nop 0                                                    // 000000002D20: BF800000
	v_cndmask_b32_e32 v4, v4, v6, vcc                          // 000000002D24: 00080D04
	v_cndmask_b32_e32 v7, v7, v5, vcc                          // 000000002D28: 000E0B07
	v_add_u32_e32 v5, 1, v4                                    // 000000002D2C: 680A0881
	v_cmp_le_u32_e32 vcc, s63, v7                              // 000000002D30: 7D960E3F
	s_nop 1                                                    // 000000002D34: BF800001
	v_cndmask_b32_e32 v7, v4, v5, vcc                          // 000000002D38: 000E0B04
	s_nop 3                                                    // 000000002D3C: BF800003
	v_readfirstlane_b32 s50, v7                                // 000000002D40: 7E640507
	s_nop 3                                                    // 000000002D44: BF800003
	s_mul_i32 s49, s50, s48                                    // 000000002D48: 92313032
	s_add_i32 s49, s49, s47                                    // 000000002D4C: 81312F31
	s_add_u32 s51, s43, 0x7f                                   // 000000002D50: 8033FF2B 0000007F
	s_lshr_b32 s62, s51, 7                                     // 000000002D58: 8F3E8733
	s_lshl_b32 s62, s62, 5                                     // 000000002D5C: 8E3E853E
	s_mov_b32 s47, 0                                           // 000000002D60: BEAF0080

0000000000002d64 <label_0059>:
	s_cmp_lt_i32 s49, s62                                      // 000000002D64: BF043E31
	s_cbranch_scc1 label_005E                                  // 000000002D68: BF850003
	s_sub_i32 s49, s49, s62                                    // 000000002D6C: 81B13E31
	s_add_i32 s47, s47, 32                                     // 000000002D70: 812FA02F
	s_branch label_0059                                        // 000000002D74: BF82FFFB

0000000000002d78 <label_005E>:
	s_sub_i32 s50, s50, s47                                    // 000000002D78: 81B22F32
	s_cmp_lt_i32 s50, 32                                       // 000000002D7C: BF04A032
	s_cbranch_scc1 label_0064                                  // 000000002D80: BF850003
	s_lshr_b32 s48, s49, 5                                     // 000000002D84: 8F308531
	s_and_b32 s62, s49, 31                                     // 000000002D88: 863E9F31
	s_branch label_0084                                        // 000000002D8C: BF820020

0000000000002d90 <label_0064>:
	v_cvt_f32_u32_e32 v4, s50                                  // 000000002D90: 7E080C32
	s_sub_i32 s48, 0, s50                                      // 000000002D94: 81B03280
	v_rcp_iflag_f32_e32 v4, v4                                 // 000000002D98: 7E084704
	s_nop 0                                                    // 000000002D9C: BF800000
	v_mul_f32_e32 v4, 0x4f7ffffe, v4                           // 000000002DA0: 0A0808FF 4F7FFFFE
	v_cvt_u32_f32_e32 v4, v4                                   // 000000002DA8: 7E080F04
	v_mul_lo_u32 v5, s48, v4                                   // 000000002DAC: D2850005 00020830
	v_mul_hi_u32 v5, v4, v5                                    // 000000002DB4: D2860005 00020B04
	v_add_u32_e32 v4, v4, v5                                   // 000000002DBC: 68080B04
	v_mul_hi_u32 v4, s49, v4                                   // 000000002DC0: D2860004 00020831
	v_mul_lo_u32 v5, v4, s50                                   // 000000002DC8: D2850005 00006504
	v_sub_u32_e32 v7, s49, v5                                  // 000000002DD0: 6A0E0A31
	v_add_u32_e32 v6, 1, v4                                    // 000000002DD4: 680C0881
	v_cmp_le_u32_e32 vcc, s50, v7                              // 000000002DD8: 7D960E32
	v_subrev_u32_e32 v5, s50, v7                               // 000000002DDC: 6C0A0E32
	s_nop 0                                                    // 000000002DE0: BF800000
	v_cndmask_b32_e32 v4, v4, v6, vcc                          // 000000002DE4: 00080D04
	v_cndmask_b32_e32 v7, v7, v5, vcc                          // 000000002DE8: 000E0B07
	v_add_u32_e32 v5, 1, v4                                    // 000000002DEC: 680A0881
	v_cmp_le_u32_e32 vcc, s50, v7                              // 000000002DF0: 7D960E32
	s_nop 1                                                    // 000000002DF4: BF800001
	v_cndmask_b32_e32 v7, v4, v5, vcc                          // 000000002DF8: 000E0B04
	s_nop 3                                                    // 000000002DFC: BF800003
	v_readfirstlane_b32 s48, v7                                // 000000002E00: 7E600507
	s_nop 3                                                    // 000000002E04: BF800003
	s_mul_i32 s62, s50, s48                                    // 000000002E08: 923E3032
	s_sub_i32 s62, s49, s62                                    // 000000002E0C: 81BE3E31

0000000000002e10 <label_0084>:
	s_add_i32 s47, s62, s47                                    // 000000002E10: 812F2F3E
	s_lshr_b32 s37, s37, 1                                     // 000000002E14: 8F258125
	s_mul_i32 s62, s48, 0x80                                   // 000000002E18: 923EFF30 00000080
	s_mul_hi_u32 s63, s37, s62                                 // 000000002E20: 963F3E25
	s_add_u32 s13, s13, s63                                    // 000000002E24: 800D3F0D
	s_mul_i32 s63, s37, s62                                    // 000000002E28: 923F3E25
	s_add_u32 s12, s12, s63                                    // 000000002E2C: 800C3F0C
	s_addc_u32 s13, s13, 0                                     // 000000002E30: 820D800D
	s_sub_i32 s63, s43, s62                                    // 000000002E34: 81BF3E2B
	s_cmp_lt_u32 s63, 0x80                                     // 000000002E38: BF0AFF3F 00000080
	s_cselect_b32 s62, s63, 0x80                               // 000000002E40: 853EFF3F 00000080
	s_mul_i32 s14, s37, s62                                    // 000000002E48: 920E3E25
	s_mov_b32 s15, 0x20000                                     // 000000002E4C: BE8F00FF 00020000
	v_lshrrev_b32_e32 v4, 3, v0                                // 000000002E54: 20080083
	v_lshrrev_b32_e32 v5, 2, v4                                // 000000002E58: 200A0882
	v_lshlrev_b32_e32 v5, 4, v5                                // 000000002E5C: 240A0A84
	v_and_b32_e32 v4, 3, v4                                    // 000000002E60: 26080883
	v_lshrrev_b32_e32 v6, 1, v4                                // 000000002E64: 200C0881
	v_lshlrev_b32_e32 v6, 2, v6                                // 000000002E68: 240C0C82
	v_add_u32_e32 v5, v5, v6                                   // 000000002E6C: 680A0D05
	v_and_b32_e32 v4, 1, v4                                    // 000000002E70: 26080881
	v_add_u32_e32 v5, v5, v4                                   // 000000002E74: 680A0905
	v_mul_lo_u32 v178, s37, v5                                 // 000000002E78: D28500B2 00020A25
	v_and_b32_e32 v4, 7, v0                                    // 000000002E80: 26080087
	v_lshlrev_b32_e32 v4, 4, v4                                // 000000002E84: 24080884
	v_add_u32_e32 v178, v4, v178                               // 000000002E88: 69656504
	s_lshr_b32 s62, s46, 1                                     // 000000002E8C: 8F3E812E
	s_mul_i32 s62, s62, 8                                      // 000000002E90: 923E883E
	s_and_b32 s63, s46, 1                                      // 000000002E94: 863F812E
	s_mul_i32 s63, s63, 2                                      // 000000002E98: 923F823F
	s_add_u32 s62, s62, s63                                    // 000000002E9C: 803E3F3E
	s_mul_i32 s62, s37, s62                                    // 000000002EA0: 923E3E25
	v_add_u32_e32 v178, s62, v178                              // 000000002EA4: 6965643E
	s_mul_i32 s62, s37, 32                                     // 000000002EA8: 923EA025
	v_add_u32_e32 v179, s62, v178                              // 000000002EAC: 6967643E
	v_add_u32_e32 v180, s62, v179                              // 000000002EB0: 6969663E
	v_add_u32_e32 v181, s62, v180                              // 000000002EB4: 696B683E
	s_mul_i32 s64, 0x420, s46                                  // 000000002EB8: 92402EFF 00000420
	s_add_u32 s64, 0x800, s64                                  // 000000002EC0: 804040FF 00000800
	v_and_b32_e32 v4, 15, v0                                   // 000000002EC8: 2608008F
	v_lshrrev_b32_e32 v5, 3, v4                                // 000000002ECC: 200A0883
	v_mul_i32_i24_e32 v5, 2, v5                                // 000000002ED0: 0C0A0A82
	v_and_b32_e32 v4, 3, v0                                    // 000000002ED4: 26080083
	v_lshrrev_b32_e32 v6, 1, v4                                // 000000002ED8: 200C0881
	v_add_u32_e32 v4, v5, v6                                   // 000000002EDC: 68080D05
	v_mul_i32_i24_e32 v182, 0x420, v4                          // 000000002EE0: 0D6C08FF 00000420
	v_and_b32_e32 v4, 7, v0                                    // 000000002EE8: 26080087
	v_lshrrev_b32_e32 v5, 2, v4                                // 000000002EEC: 200A0882
	v_mul_i32_i24_e32 v5, 0x100, v5                            // 000000002EF0: 0C0A0AFF 00000100
	v_add_u32_e32 v182, v5, v182                               // 000000002EF8: 696D6D05
	v_and_b32_e32 v4, 1, v0                                    // 000000002EFC: 26080081
	v_mul_i32_i24_e32 v6, 0x80, v4                             // 000000002F00: 0C0C08FF 00000080
	v_add_u32_e32 v182, v6, v182                               // 000000002F08: 696D6D06
	v_lshrrev_b32_e32 v4, 4, v0                                // 000000002F0C: 20080084
	v_mul_i32_i24_e32 v4, 16, v4                               // 000000002F10: 0C080890
	v_add_u32_e32 v182, v4, v182                               // 000000002F14: 696D6D04
	v_add_u32_e32 v182, 0x800, v182                            // 000000002F18: 696D6CFF 00000800
	v_add_u32_e32 v183, 0x4200, v182                           // 000000002F20: 696F6CFF 00004200
	s_mul_i32 s62, s48, 0x80                                   // 000000002F28: 923EFF30 00000080
	s_mul_hi_u32 s63, s39, s62                                 // 000000002F30: 963F3E27
	s_add_u32 s21, s21, s63                                    // 000000002F34: 80153F15
	s_mul_i32 s63, s39, s62                                    // 000000002F38: 923F3E27
	s_add_u32 s20, s20, s63                                    // 000000002F3C: 80143F14
	s_addc_u32 s21, s21, 0                                     // 000000002F40: 82158015
	s_add_u32 s63, s43, 31                                     // 000000002F44: 803F9F2B
	s_lshr_b32 s63, s63, 5                                     // 000000002F48: 8F3F853F
	s_lshl_b32 s63, s63, 5                                     // 000000002F4C: 8E3F853F
	s_sub_i32 s63, s63, s62                                    // 000000002F50: 81BF3E3F
	s_cmp_lt_u32 s63, 0x80                                     // 000000002F54: BF0AFF3F 00000080
	s_cselect_b32 s62, s63, 0x80                               // 000000002F5C: 853EFF3F 00000080
	s_mul_i32 s22, s39, s62                                    // 000000002F64: 92163E27
	s_mov_b32 s23, 0x20000                                     // 000000002F68: BE9700FF 00020000
	v_lshlrev_b32_e32 v184, 2, v0                              // 000000002F70: 25700082
	s_mul_i32 s63, s46, 32                                     // 000000002F74: 923FA02E
	s_mul_i32 s63, s63, s39                                    // 000000002F78: 923F273F
	v_add_u32_e32 v184, s63, v184                              // 000000002F7C: 6971703F
	s_mul_i32 s65, s46, 0x100                                  // 000000002F80: 9241FF2E 00000100
	s_add_i32 s65, s65, 0                                      // 000000002F88: 81418041
	v_lshlrev_b32_e32 v185, 2, v0                              // 000000002F8C: 25720082
	v_add_u32_e32 v185, 0, v185                                // 000000002F90: 69737280
	s_lshr_b32 s38, s38, 1                                     // 000000002F94: 8F268126
	s_mul_i32 s62, s47, 0x180                                  // 000000002F98: 923EFF2F 00000180
	s_mul_hi_u32 s63, s38, s62                                 // 000000002FA0: 963F3E26
	s_add_u32 s17, s17, s63                                    // 000000002FA4: 80113F11
	s_mul_i32 s63, s38, s62                                    // 000000002FA8: 923F3E26
	s_add_u32 s16, s16, s63                                    // 000000002FAC: 80103F10
	s_addc_u32 s17, s17, 0                                     // 000000002FB0: 82118011
	s_sub_i32 s63, s44, s62                                    // 000000002FB4: 81BF3E2C
	s_cmp_lt_u32 s63, 0x180                                    // 000000002FB8: BF0AFF3F 00000180
	s_cselect_b32 s62, s63, 0x180                              // 000000002FC0: 853EFF3F 00000180
	s_mul_i32 s18, s38, s62                                    // 000000002FC8: 92123E26
	s_mov_b32 s19, 0x20000                                     // 000000002FCC: BE9300FF 00020000
	v_lshlrev_b32_e32 v186, 4, v0                              // 000000002FD4: 25740084
	s_mul_i32 s63, s46, 0x60                                   // 000000002FD8: 923FFF2E 00000060
	s_mul_i32 s62, s63, s38                                    // 000000002FE0: 923E263F
	v_add_u32_e32 v186, s62, v186                              // 000000002FE4: 6975743E
	s_mul_i32 s62, 16, s38                                     // 000000002FE8: 923E2690
	v_add_u32_e32 v187, s62, v186                              // 000000002FEC: 6977743E
	v_add_u32_e32 v188, s62, v187                              // 000000002FF0: 6979763E
	v_add_u32_e32 v189, s62, v188                              // 000000002FF4: 697B783E
	v_add_u32_e32 v190, s62, v189                              // 000000002FF8: 697D7A3E
	v_add_u32_e32 v191, s62, v190                              // 000000002FFC: 697F7C3E
	s_mul_i32 s62, s47, 0x180                                  // 000000003000: 923EFF2F 00000180
	s_mul_hi_u32 s63, s40, s62                                 // 000000003008: 963F3E28
	s_add_u32 s25, s25, s63                                    // 00000000300C: 80193F19
	s_mul_i32 s63, s40, s62                                    // 000000003010: 923F3E28
	s_add_u32 s24, s24, s63                                    // 000000003014: 80183F18
	s_addc_u32 s25, s25, 0                                     // 000000003018: 82198019
	s_sub_i32 s63, s44, s62                                    // 00000000301C: 81BF3E2C
	s_cmp_lt_u32 s63, 0x180                                    // 000000003020: BF0AFF3F 00000180
	s_cselect_b32 s62, s63, 0x180                              // 000000003028: 853EFF3F 00000180
	s_mul_i32 s26, s40, s62                                    // 000000003030: 921A3E28
	s_mov_b32 s27, 0x20000                                     // 000000003034: BE9B00FF 00020000
	v_lshlrev_b32_e32 v192, 2, v0                              // 00000000303C: 25800082
	s_mul_i32 s63, s46, 0x60                                   // 000000003040: 923FFF2E 00000060
	s_mul_i32 s63, s63, s40                                    // 000000003048: 923F283F
	v_add_u32_e32 v192, s63, v192                              // 00000000304C: 6981803F
	s_mul_i32 s62, 32, s40                                     // 000000003050: 923E28A0
	v_add_u32_e32 v193, s62, v192                              // 000000003054: 6983803E
	v_add_u32_e32 v194, s62, v193                              // 000000003058: 6985823E
	s_mov_b32 s66, 0x80                                        // 00000000305C: BEC200FF 00000080
	s_mov_b32 s67, 0x800                                       // 000000003064: BEC300FF 00000800
	s_mov_b32 s68, 0x100                                       // 00000000306C: BEC400FF 00000100
	s_mov_b32 s69, 0x100                                       // 000000003074: BEC500FF 00000100
	s_mov_b32 s60, 0                                           // 00000000307C: BEBC0080
	s_mov_b32 s61, s45                                         // 000000003080: BEBD002D
	s_add_u32 m0, 0, s65                                       // 000000003084: 807C4180
	buffer_load_dword v184, s[20:23], 0 offen lds              // 000000003088: E0511000 800500B8
	v_accvgpr_write_b32 a0, 0                                  // 000000003090: D3D94000 18000080
	v_accvgpr_write_b32 a1, 0                                  // 000000003098: D3D94001 18000080
	v_accvgpr_write_b32 a2, 0                                  // 0000000030A0: D3D94002 18000080
	v_accvgpr_write_b32 a3, 0                                  // 0000000030A8: D3D94003 18000080
	v_accvgpr_write_b32 a4, 0                                  // 0000000030B0: D3D94004 18000080
	v_accvgpr_write_b32 a5, 0                                  // 0000000030B8: D3D94005 18000080
	s_add_u32 m0, 0, s64                                       // 0000000030C0: 807C4080
	buffer_load_dwordx4 v178, s[12:15], 0 offen lds            // 0000000030C4: E05D1000 800300B2
	v_accvgpr_write_b32 a6, 0                                  // 0000000030CC: D3D94006 18000080
	v_accvgpr_write_b32 a7, 0                                  // 0000000030D4: D3D94007 18000080
	v_accvgpr_write_b32 a8, 0                                  // 0000000030DC: D3D94008 18000080
	v_accvgpr_write_b32 a9, 0                                  // 0000000030E4: D3D94009 18000080
	v_accvgpr_write_b32 a10, 0                                 // 0000000030EC: D3D9400A 18000080
	v_accvgpr_write_b32 a11, 0                                 // 0000000030F4: D3D9400B 18000080
	s_add_u32 m0, 0x1080, s64                                  // 0000000030FC: 807C40FF 00001080
	buffer_load_dwordx4 v179, s[12:15], 0 offen lds            // 000000003104: E05D1000 800300B3
	v_accvgpr_write_b32 a12, 0                                 // 00000000310C: D3D9400C 18000080
	v_accvgpr_write_b32 a13, 0                                 // 000000003114: D3D9400D 18000080
	v_accvgpr_write_b32 a14, 0                                 // 00000000311C: D3D9400E 18000080
	v_accvgpr_write_b32 a15, 0                                 // 000000003124: D3D9400F 18000080
	v_accvgpr_write_b32 a16, 0                                 // 00000000312C: D3D94010 18000080
	v_accvgpr_write_b32 a17, 0                                 // 000000003134: D3D94011 18000080
	buffer_load_dwordx4 v[72:75], v186, s[16:19], 0 offen      // 00000000313C: E05C1000 800448BA
	v_accvgpr_write_b32 a18, 0                                 // 000000003144: D3D94012 18000080
	v_accvgpr_write_b32 a19, 0                                 // 00000000314C: D3D94013 18000080
	v_accvgpr_write_b32 a20, 0                                 // 000000003154: D3D94014 18000080
	v_accvgpr_write_b32 a21, 0                                 // 00000000315C: D3D94015 18000080
	v_accvgpr_write_b32 a22, 0                                 // 000000003164: D3D94016 18000080
	v_accvgpr_write_b32 a23, 0                                 // 00000000316C: D3D94017 18000080
	buffer_load_dwordx4 v[76:79], v187, s[16:19], 0 offen      // 000000003174: E05C1000 80044CBB
	v_accvgpr_write_b32 a24, 0                                 // 00000000317C: D3D94018 18000080
	v_accvgpr_write_b32 a25, 0                                 // 000000003184: D3D94019 18000080
	v_accvgpr_write_b32 a26, 0                                 // 00000000318C: D3D9401A 18000080
	v_accvgpr_write_b32 a27, 0                                 // 000000003194: D3D9401B 18000080
	v_accvgpr_write_b32 a28, 0                                 // 00000000319C: D3D9401C 18000080
	v_accvgpr_write_b32 a29, 0                                 // 0000000031A4: D3D9401D 18000080
	buffer_load_dwordx4 v[80:83], v186, s[16:19], 0 offen offset:1024// 0000000031AC: E05C1400 800450BA
	v_accvgpr_write_b32 a30, 0                                 // 0000000031B4: D3D9401E 18000080
	v_accvgpr_write_b32 a31, 0                                 // 0000000031BC: D3D9401F 18000080
	v_accvgpr_write_b32 a32, 0                                 // 0000000031C4: D3D94020 18000080
	v_accvgpr_write_b32 a33, 0                                 // 0000000031CC: D3D94021 18000080
	v_accvgpr_write_b32 a34, 0                                 // 0000000031D4: D3D94022 18000080
	v_accvgpr_write_b32 a35, 0                                 // 0000000031DC: D3D94023 18000080
	buffer_load_dwordx4 v[84:87], v187, s[16:19], 0 offen offset:1024// 0000000031E4: E05C1400 800454BB
	v_accvgpr_write_b32 a36, 0                                 // 0000000031EC: D3D94024 18000080
	v_accvgpr_write_b32 a37, 0                                 // 0000000031F4: D3D94025 18000080
	v_accvgpr_write_b32 a38, 0                                 // 0000000031FC: D3D94026 18000080
	v_accvgpr_write_b32 a39, 0                                 // 000000003204: D3D94027 18000080
	v_accvgpr_write_b32 a40, 0                                 // 00000000320C: D3D94028 18000080
	v_accvgpr_write_b32 a41, 0                                 // 000000003214: D3D94029 18000080
	buffer_load_dword v172, v192, s[24:27], 0 offen            // 00000000321C: E0501000 8006ACC0
	v_accvgpr_write_b32 a42, 0                                 // 000000003224: D3D9402A 18000080
	v_accvgpr_write_b32 a43, 0                                 // 00000000322C: D3D9402B 18000080
	v_accvgpr_write_b32 a44, 0                                 // 000000003234: D3D9402C 18000080
	v_accvgpr_write_b32 a45, 0                                 // 00000000323C: D3D9402D 18000080
	v_accvgpr_write_b32 a46, 0                                 // 000000003244: D3D9402E 18000080
	v_accvgpr_write_b32 a47, 0                                 // 00000000324C: D3D9402F 18000080
	s_add_u32 m0, 0x2100, s64                                  // 000000003254: 807C40FF 00002100
	buffer_load_dwordx4 v180, s[12:15], 0 offen lds            // 00000000325C: E05D1000 800300B4
	v_accvgpr_write_b32 a48, 0                                 // 000000003264: D3D94030 18000080
	v_accvgpr_write_b32 a49, 0                                 // 00000000326C: D3D94031 18000080
	v_accvgpr_write_b32 a50, 0                                 // 000000003274: D3D94032 18000080
	v_accvgpr_write_b32 a51, 0                                 // 00000000327C: D3D94033 18000080
	v_accvgpr_write_b32 a52, 0                                 // 000000003284: D3D94034 18000080
	v_accvgpr_write_b32 a53, 0                                 // 00000000328C: D3D94035 18000080
	s_add_u32 m0, 0x3180, s64                                  // 000000003294: 807C40FF 00003180
	buffer_load_dwordx4 v181, s[12:15], 0 offen lds            // 00000000329C: E05D1000 800300B5
	v_accvgpr_write_b32 a54, 0                                 // 0000000032A4: D3D94036 18000080
	v_accvgpr_write_b32 a55, 0                                 // 0000000032AC: D3D94037 18000080
	v_accvgpr_write_b32 a56, 0                                 // 0000000032B4: D3D94038 18000080
	v_accvgpr_write_b32 a57, 0                                 // 0000000032BC: D3D94039 18000080
	v_accvgpr_write_b32 a58, 0                                 // 0000000032C4: D3D9403A 18000080
	v_accvgpr_write_b32 a59, 0                                 // 0000000032CC: D3D9403B 18000080
	s_add_u32 s62, 0x100, s60                                  // 0000000032D4: 803E3CFF 00000100
	s_cmp_lt_u32 s62, s61                                      // 0000000032DC: BF0A3D3E
	s_cselect_b32 s66, s66, 0                                  // 0000000032E0: 85428042
	s_cselect_b32 s68, s68, 0                                  // 0000000032E4: 85448044
	s_add_u32 s12, s12, s66                                    // 0000000032E8: 800C420C
	s_addc_u32 s13, 0, s13                                     // 0000000032EC: 820D0D80
	s_sub_u32 s14, s14, s66                                    // 0000000032F0: 808E420E
	s_add_u32 s20, s20, s68                                    // 0000000032F4: 80144414
	s_addc_u32 s21, 0, s21                                     // 0000000032F8: 82151580
	s_sub_u32 s22, s22, s68                                    // 0000000032FC: 80964416
	buffer_load_dwordx4 v[88:91], v188, s[16:19], 0 offen      // 000000003300: E05C1000 800458BC
	v_accvgpr_write_b32 a60, 0                                 // 000000003308: D3D9403C 18000080
	v_accvgpr_write_b32 a61, 0                                 // 000000003310: D3D9403D 18000080
	v_accvgpr_write_b32 a62, 0                                 // 000000003318: D3D9403E 18000080
	v_accvgpr_write_b32 a63, 0                                 // 000000003320: D3D9403F 18000080
	v_accvgpr_write_b32 a64, 0                                 // 000000003328: D3D94040 18000080
	v_accvgpr_write_b32 a65, 0                                 // 000000003330: D3D94041 18000080
	buffer_load_dwordx4 v[92:95], v189, s[16:19], 0 offen      // 000000003338: E05C1000 80045CBD
	v_accvgpr_write_b32 a66, 0                                 // 000000003340: D3D94042 18000080
	v_accvgpr_write_b32 a67, 0                                 // 000000003348: D3D94043 18000080
	v_accvgpr_write_b32 a68, 0                                 // 000000003350: D3D94044 18000080
	v_accvgpr_write_b32 a69, 0                                 // 000000003358: D3D94045 18000080
	v_accvgpr_write_b32 a70, 0                                 // 000000003360: D3D94046 18000080
	v_accvgpr_write_b32 a71, 0                                 // 000000003368: D3D94047 18000080
	buffer_load_dwordx4 v[96:99], v188, s[16:19], 0 offen offset:1024// 000000003370: E05C1400 800460BC
	v_accvgpr_write_b32 a72, 0                                 // 000000003378: D3D94048 18000080
	v_accvgpr_write_b32 a73, 0                                 // 000000003380: D3D94049 18000080
	v_accvgpr_write_b32 a74, 0                                 // 000000003388: D3D9404A 18000080
	v_accvgpr_write_b32 a75, 0                                 // 000000003390: D3D9404B 18000080
	v_accvgpr_write_b32 a76, 0                                 // 000000003398: D3D9404C 18000080
	v_accvgpr_write_b32 a77, 0                                 // 0000000033A0: D3D9404D 18000080
	buffer_load_dwordx4 v[100:103], v189, s[16:19], 0 offen offset:1024// 0000000033A8: E05C1400 800464BD
	v_accvgpr_write_b32 a78, 0                                 // 0000000033B0: D3D9404E 18000080
	v_accvgpr_write_b32 a79, 0                                 // 0000000033B8: D3D9404F 18000080
	v_accvgpr_write_b32 a80, 0                                 // 0000000033C0: D3D94050 18000080
	v_accvgpr_write_b32 a81, 0                                 // 0000000033C8: D3D94051 18000080
	v_accvgpr_write_b32 a82, 0                                 // 0000000033D0: D3D94052 18000080
	v_accvgpr_write_b32 a83, 0                                 // 0000000033D8: D3D94053 18000080
	buffer_load_dword v173, v193, s[24:27], 0 offen            // 0000000033E0: E0501000 8006ADC1
	v_accvgpr_write_b32 a84, 0                                 // 0000000033E8: D3D94054 18000080
	v_accvgpr_write_b32 a85, 0                                 // 0000000033F0: D3D94055 18000080
	v_accvgpr_write_b32 a86, 0                                 // 0000000033F8: D3D94056 18000080
	v_accvgpr_write_b32 a87, 0                                 // 000000003400: D3D94057 18000080
	v_accvgpr_write_b32 a88, 0                                 // 000000003408: D3D94058 18000080
	v_accvgpr_write_b32 a89, 0                                 // 000000003410: D3D94059 18000080
	buffer_load_dwordx4 v[104:107], v190, s[16:19], 0 offen    // 000000003418: E05C1000 800468BE
	v_accvgpr_write_b32 a90, 0                                 // 000000003420: D3D9405A 18000080
	v_accvgpr_write_b32 a91, 0                                 // 000000003428: D3D9405B 18000080
	v_accvgpr_write_b32 a92, 0                                 // 000000003430: D3D9405C 18000080
	v_accvgpr_write_b32 a93, 0                                 // 000000003438: D3D9405D 18000080
	v_accvgpr_write_b32 a94, 0                                 // 000000003440: D3D9405E 18000080
	v_accvgpr_write_b32 a95, 0                                 // 000000003448: D3D9405F 18000080
	buffer_load_dwordx4 v[108:111], v191, s[16:19], 0 offen    // 000000003450: E05C1000 80046CBF
	v_accvgpr_write_b32 a96, 0                                 // 000000003458: D3D94060 18000080
	v_accvgpr_write_b32 a97, 0                                 // 000000003460: D3D94061 18000080
	v_accvgpr_write_b32 a98, 0                                 // 000000003468: D3D94062 18000080
	v_accvgpr_write_b32 a99, 0                                 // 000000003470: D3D94063 18000080
	v_accvgpr_write_b32 a100, 0                                // 000000003478: D3D94064 18000080
	v_accvgpr_write_b32 a101, 0                                // 000000003480: D3D94065 18000080
	buffer_load_dwordx4 v[112:115], v190, s[16:19], 0 offen offset:1024// 000000003488: E05C1400 800470BE
	v_accvgpr_write_b32 a102, 0                                // 000000003490: D3D94066 18000080
	v_accvgpr_write_b32 a103, 0                                // 000000003498: D3D94067 18000080
	v_accvgpr_write_b32 a104, 0                                // 0000000034A0: D3D94068 18000080
	v_accvgpr_write_b32 a105, 0                                // 0000000034A8: D3D94069 18000080
	v_accvgpr_write_b32 a106, 0                                // 0000000034B0: D3D9406A 18000080
	v_accvgpr_write_b32 a107, 0                                // 0000000034B8: D3D9406B 18000080
	buffer_load_dwordx4 v[116:119], v191, s[16:19], 0 offen offset:1024// 0000000034C0: E05C1400 800474BF
	v_accvgpr_write_b32 a108, 0                                // 0000000034C8: D3D9406C 18000080
	v_accvgpr_write_b32 a109, 0                                // 0000000034D0: D3D9406D 18000080
	v_accvgpr_write_b32 a110, 0                                // 0000000034D8: D3D9406E 18000080
	v_accvgpr_write_b32 a111, 0                                // 0000000034E0: D3D9406F 18000080
	v_accvgpr_write_b32 a112, 0                                // 0000000034E8: D3D94070 18000080
	v_accvgpr_write_b32 a113, 0                                // 0000000034F0: D3D94071 18000080
	buffer_load_dword v174, v194, s[24:27], 0 offen            // 0000000034F8: E0501000 8006AEC2
	v_accvgpr_write_b32 a114, 0                                // 000000003500: D3D94072 18000080
	v_accvgpr_write_b32 a115, 0                                // 000000003508: D3D94073 18000080
	v_accvgpr_write_b32 a116, 0                                // 000000003510: D3D94074 18000080
	v_accvgpr_write_b32 a117, 0                                // 000000003518: D3D94075 18000080
	v_accvgpr_write_b32 a118, 0                                // 000000003520: D3D94076 18000080
	v_accvgpr_write_b32 a119, 0                                // 000000003528: D3D94077 18000080
	s_add_u32 s63, 0x100, s60                                  // 000000003530: 803F3CFF 00000100
	s_cmp_lt_u32 s63, s61                                      // 000000003538: BF0A3D3F
	s_cselect_b32 s67, s67, 0                                  // 00000000353C: 85438043
	s_cselect_b32 s69, s69, 0                                  // 000000003540: 85458045
	s_add_u32 s16, s16, s67                                    // 000000003544: 80104310
	s_addc_u32 s17, 0, s17                                     // 000000003548: 82111180
	s_sub_u32 s18, s18, s67                                    // 00000000354C: 80924312
	s_add_u32 s24, s24, s69                                    // 000000003550: 80184518
	s_addc_u32 s25, 0, s25                                     // 000000003554: 82191980
	s_sub_u32 s26, s26, s69                                    // 000000003558: 809A451A
	v_accvgpr_write_b32 a120, 0                                // 00000000355C: D3D94078 18000080
	v_accvgpr_write_b32 a121, 0                                // 000000003564: D3D94079 18000080
	v_accvgpr_write_b32 a122, 0                                // 00000000356C: D3D9407A 18000080
	v_accvgpr_write_b32 a123, 0                                // 000000003574: D3D9407B 18000080
	v_accvgpr_write_b32 a124, 0                                // 00000000357C: D3D9407C 18000080
	v_accvgpr_write_b32 a125, 0                                // 000000003584: D3D9407D 18000080
	v_accvgpr_write_b32 a126, 0                                // 00000000358C: D3D9407E 18000080
	v_accvgpr_write_b32 a127, 0                                // 000000003594: D3D9407F 18000080
	v_accvgpr_write_b32 a128, 0                                // 00000000359C: D3D94080 18000080
	v_accvgpr_write_b32 a129, 0                                // 0000000035A4: D3D94081 18000080
	v_accvgpr_write_b32 a130, 0                                // 0000000035AC: D3D94082 18000080
	v_accvgpr_write_b32 a131, 0                                // 0000000035B4: D3D94083 18000080
	v_accvgpr_write_b32 a132, 0                                // 0000000035BC: D3D94084 18000080
	v_accvgpr_write_b32 a133, 0                                // 0000000035C4: D3D94085 18000080
	v_accvgpr_write_b32 a134, 0                                // 0000000035CC: D3D94086 18000080
	v_accvgpr_write_b32 a135, 0                                // 0000000035D4: D3D94087 18000080
	v_accvgpr_write_b32 a136, 0                                // 0000000035DC: D3D94088 18000080
	v_accvgpr_write_b32 a137, 0                                // 0000000035E4: D3D94089 18000080
	v_accvgpr_write_b32 a138, 0                                // 0000000035EC: D3D9408A 18000080
	v_accvgpr_write_b32 a139, 0                                // 0000000035F4: D3D9408B 18000080
	v_accvgpr_write_b32 a140, 0                                // 0000000035FC: D3D9408C 18000080
	v_accvgpr_write_b32 a141, 0                                // 000000003604: D3D9408D 18000080
	v_accvgpr_write_b32 a142, 0                                // 00000000360C: D3D9408E 18000080
	v_accvgpr_write_b32 a143, 0                                // 000000003614: D3D9408F 18000080
	v_accvgpr_write_b32 a144, 0                                // 00000000361C: D3D94090 18000080
	v_accvgpr_write_b32 a145, 0                                // 000000003624: D3D94091 18000080
	v_accvgpr_write_b32 a146, 0                                // 00000000362C: D3D94092 18000080
	v_accvgpr_write_b32 a147, 0                                // 000000003634: D3D94093 18000080
	v_accvgpr_write_b32 a148, 0                                // 00000000363C: D3D94094 18000080
	v_accvgpr_write_b32 a149, 0                                // 000000003644: D3D94095 18000080
	v_accvgpr_write_b32 a150, 0                                // 00000000364C: D3D94096 18000080
	v_accvgpr_write_b32 a151, 0                                // 000000003654: D3D94097 18000080
	v_accvgpr_write_b32 a152, 0                                // 00000000365C: D3D94098 18000080
	v_accvgpr_write_b32 a153, 0                                // 000000003664: D3D94099 18000080
	v_accvgpr_write_b32 a154, 0                                // 00000000366C: D3D9409A 18000080
	v_accvgpr_write_b32 a155, 0                                // 000000003674: D3D9409B 18000080
	v_accvgpr_write_b32 a156, 0                                // 00000000367C: D3D9409C 18000080
	v_accvgpr_write_b32 a157, 0                                // 000000003684: D3D9409D 18000080
	v_accvgpr_write_b32 a158, 0                                // 00000000368C: D3D9409E 18000080
	v_accvgpr_write_b32 a159, 0                                // 000000003694: D3D9409F 18000080
	v_accvgpr_write_b32 a160, 0                                // 00000000369C: D3D940A0 18000080
	v_accvgpr_write_b32 a161, 0                                // 0000000036A4: D3D940A1 18000080
	v_accvgpr_write_b32 a162, 0                                // 0000000036AC: D3D940A2 18000080
	v_accvgpr_write_b32 a163, 0                                // 0000000036B4: D3D940A3 18000080
	v_accvgpr_write_b32 a164, 0                                // 0000000036BC: D3D940A4 18000080
	v_accvgpr_write_b32 a165, 0                                // 0000000036C4: D3D940A5 18000080
	v_accvgpr_write_b32 a166, 0                                // 0000000036CC: D3D940A6 18000080
	v_accvgpr_write_b32 a167, 0                                // 0000000036D4: D3D940A7 18000080
	v_accvgpr_write_b32 a168, 0                                // 0000000036DC: D3D940A8 18000080
	v_accvgpr_write_b32 a169, 0                                // 0000000036E4: D3D940A9 18000080
	v_accvgpr_write_b32 a170, 0                                // 0000000036EC: D3D940AA 18000080
	v_accvgpr_write_b32 a171, 0                                // 0000000036F4: D3D940AB 18000080
	v_accvgpr_write_b32 a172, 0                                // 0000000036FC: D3D940AC 18000080
	v_accvgpr_write_b32 a173, 0                                // 000000003704: D3D940AD 18000080
	v_accvgpr_write_b32 a174, 0                                // 00000000370C: D3D940AE 18000080
	v_accvgpr_write_b32 a175, 0                                // 000000003714: D3D940AF 18000080
	v_accvgpr_write_b32 a176, 0                                // 00000000371C: D3D940B0 18000080
	v_accvgpr_write_b32 a177, 0                                // 000000003724: D3D940B1 18000080
	v_accvgpr_write_b32 a178, 0                                // 00000000372C: D3D940B2 18000080
	v_accvgpr_write_b32 a179, 0                                // 000000003734: D3D940B3 18000080
	v_accvgpr_write_b32 a180, 0                                // 00000000373C: D3D940B4 18000080
	v_accvgpr_write_b32 a181, 0                                // 000000003744: D3D940B5 18000080
	v_accvgpr_write_b32 a182, 0                                // 00000000374C: D3D940B6 18000080
	v_accvgpr_write_b32 a183, 0                                // 000000003754: D3D940B7 18000080
	v_accvgpr_write_b32 a184, 0                                // 00000000375C: D3D940B8 18000080
	v_accvgpr_write_b32 a185, 0                                // 000000003764: D3D940B9 18000080
	v_accvgpr_write_b32 a186, 0                                // 00000000376C: D3D940BA 18000080
	v_accvgpr_write_b32 a187, 0                                // 000000003774: D3D940BB 18000080
	v_accvgpr_write_b32 a188, 0                                // 00000000377C: D3D940BC 18000080
	v_accvgpr_write_b32 a189, 0                                // 000000003784: D3D940BD 18000080
	v_accvgpr_write_b32 a190, 0                                // 00000000378C: D3D940BE 18000080
	v_accvgpr_write_b32 a191, 0                                // 000000003794: D3D940BF 18000080
	s_waitcnt vmcnt(17)                                        // 00000000379C: BF8C4F71
	s_barrier                                                  // 0000000037A0: BF8A0000
	ds_read_b128 v[8:11], v182                                 // 0000000037A4: D9FE0000 080000B6
	ds_read_b128 v[16:19], v182 offset:64                      // 0000000037AC: D9FE0040 100000B6
	ds_read_b128 v[12:15], v182 offset:512                     // 0000000037B4: D9FE0200 0C0000B6
	ds_read_b128 v[20:23], v182 offset:576                     // 0000000037BC: D9FE0240 140000B6
	ds_read_b32 v168, v185                                     // 0000000037C4: D86C0000 A80000B9
	ds_read_b128 v[24:27], v182 offset:4224                    // 0000000037CC: D9FE1080 180000B6
	ds_read_b128 v[32:35], v182 offset:4288                    // 0000000037D4: D9FE10C0 200000B6
	ds_read_b128 v[28:31], v182 offset:4736                    // 0000000037DC: D9FE1280 1C0000B6
	ds_read_b128 v[36:39], v182 offset:4800                    // 0000000037E4: D9FE12C0 240000B6
	ds_read_b32 v169, v185 offset:256                          // 0000000037EC: D86C0100 A90000B9
	s_nop 0                                                    // 0000000037F4: BF800000
	s_nop 0                                                    // 0000000037F8: BF800000
	s_nop 0                                                    // 0000000037FC: BF800000
	s_nop 0                                                    // 000000003800: BF800000
	s_nop 0                                                    // 000000003804: BF800000
	s_lshl_b32 s36, s36, 1                                     // 000000003808: 8E248124
	s_mul_i32 s62, s48, 0x80                                   // 00000000380C: 923EFF30 00000080
	s_mul_hi_u32 s63, s36, s62                                 // 000000003814: 963F3E24
	s_add_u32 s5, s5, s63                                      // 000000003818: 80053F05
	s_mul_i32 s63, s36, s62                                    // 00000000381C: 923F3E24
	s_add_u32 s4, s4, s63                                      // 000000003820: 80043F04
	s_addc_u32 s5, s5, 0                                       // 000000003824: 82058005
	s_mul_i32 s63, s47, 0x180                                  // 000000003828: 923FFF2F 00000180
	s_lshl_b32 s63, s63, 1                                     // 000000003830: 8E3F813F
	s_add_u32 s4, s4, s63                                      // 000000003834: 80043F04
	s_addc_u32 s5, s5, 0                                       // 000000003838: 82058005
	s_sub_i32 s62, s43, s62                                    // 00000000383C: 81BE3E2B
	s_cmp_lt_u32 s62, 0x80                                     // 000000003840: BF0AFF3E 00000080
	s_cselect_b32 s62, s62, 0x80                               // 000000003848: 853EFF3E 00000080
	s_mul_i32 s62, s36, s62                                    // 000000003850: 923E3E24
	s_sub_i32 s6, s62, s63                                     // 000000003854: 81863F3E
	s_mov_b32 s7, 0x20000                                      // 000000003858: BE8700FF 00020000
	s_mul_i32 s62, s46, 0x60                                   // 000000003860: 923EFF2E 00000060
	s_lshl_b32 s62, s62, 1                                     // 000000003868: 8E3E813E
	v_lshrrev_b32_e32 v4, 5, v0                                // 00000000386C: 20080085
	v_mul_i32_i24_e32 v4, 16, v4                               // 000000003870: 0C080890
	v_lshrrev_b32_e32 v5, 4, v0                                // 000000003874: 200A0084
	v_and_b32_e32 v5, 1, v5                                    // 000000003878: 260A0A81
	v_mul_i32_i24_e32 v5, 32, v5                               // 00000000387C: 0C0A0AA0
	v_add_u32_e32 v4, v4, v5                                   // 000000003880: 68080B04
	v_and_b32_e32 v5, 15, v0                                   // 000000003884: 260A008F
	v_mul_lo_u32 v195, s36, v5                                 // 000000003888: D28500C3 00020A24
	v_add_u32_e32 v195, s62, v195                              // 000000003890: 6987863E
	v_add_u32_e32 v195, v4, v195                               // 000000003894: 69878704
	s_cmp_lt_i32 s46, 2                                        // 000000003898: BF04822E
	s_cbranch_scc0 label_071F                                  // 00000000389C: BF8403F7

00000000000038a0 <label_0328>:
	s_waitcnt vmcnt(10) lgkmcnt(5)                             // 0000000038A0: BF8C057A
	s_barrier                                                  // 0000000038A4: BF8A0000
	v_mfma_scale_f32_16x16x128_f8f6f4 a[0:3], v[72:75], v[8:11], a[0:3], v172, v168 op_sel_hi:[0,0,0] cbsz:4 blgp:4// 0000000038A8: D3AC6000 000351AC D3AD8C00 84021148
	ds_read_b128 v[40:43], v182 offset:8448                    // 0000000038B8: D9FE2100 280000B6
	v_mfma_scale_f32_16x16x128_f8f6f4 a[4:7], v[72:75], v[12:15], a[4:7], v172, v168 op_sel_hi:[0,0,0] cbsz:4 blgp:4// 0000000038C0: D3AC7000 000351AC D3AD8C04 84121948
	s_add_u32 m0, 0x400, s65                                   // 0000000038D0: 807C41FF 00000400
	buffer_load_dword v184, s[20:23], 0 offen lds              // 0000000038D8: E0511000 800500B8
	v_mfma_scale_f32_16x16x128_f8f6f4 a[8:11], v[76:79], v[8:11], a[8:11], v172, v168 op_sel_hi:[0,0,0] cbsz:4 blgp:4// 0000000038E0: D3AC6800 000351AC D3AD8C08 8422114C
	ds_read_b128 v[48:51], v182 offset:8512                    // 0000000038F0: D9FE2140 300000B6
	v_mfma_scale_f32_16x16x128_f8f6f4 a[12:15], v[76:79], v[12:15], a[12:15], v172, v168 op_sel_hi:[0,0,0] cbsz:4 blgp:4// 0000000038F8: D3AC7800 000351AC D3AD8C0C 8432194C
	v_mfma_scale_f32_16x16x128_f8f6f4 a[0:3], v[80:83], v[16:19], a[0:3], v172, v168 op_sel_hi:[0,0,0] cbsz:4 blgp:4// 000000003908: D3AC6000 180351AC D3AD8C00 84022150
	ds_read_b128 v[44:47], v182 offset:8960                    // 000000003918: D9FE2300 2C0000B6
	v_mfma_scale_f32_16x16x128_f8f6f4 a[4:7], v[80:83], v[20:23], a[4:7], v172, v168 op_sel_hi:[0,0,0] cbsz:4 blgp:4// 000000003920: D3AC7000 180351AC D3AD8C04 84122950
	s_add_u32 m0, 0x4200, s64                                  // 000000003930: 807C40FF 00004200
	buffer_load_dwordx4 v178, s[12:15], 0 offen lds            // 000000003938: E05D1000 800300B2
	v_mfma_scale_f32_16x16x128_f8f6f4 a[8:11], v[84:87], v[16:19], a[8:11], v172, v168 op_sel_hi:[0,0,0] cbsz:4 blgp:4// 000000003940: D3AC6800 180351AC D3AD8C08 84222154
	ds_read_b128 v[52:55], v182 offset:9024                    // 000000003950: D9FE2340 340000B6
	v_mfma_scale_f32_16x16x128_f8f6f4 a[12:15], v[84:87], v[20:23], a[12:15], v172, v168 op_sel_hi:[0,0,0] cbsz:4 blgp:4// 000000003958: D3AC7800 180351AC D3AD8C0C 84322954
	ds_read_b32 v170, v185 offset:512                          // 000000003968: D86C0200 AA0000B9
	s_waitcnt lgkmcnt(5)                                       // 000000003970: BF8CC57F
	v_mfma_scale_f32_16x16x128_f8f6f4 a[48:51], v[72:75], v[24:27], a[48:51], v172, v169 op_sel_hi:[0,0,0] cbsz:4 blgp:4// 000000003974: D3AC6000 000353AC D3AD8C30 84C23148
	ds_read_b128 v[56:59], v182 offset:12672                   // 000000003984: D9FE3180 380000B6
	v_mfma_scale_f32_16x16x128_f8f6f4 a[52:55], v[72:75], v[28:31], a[52:55], v172, v169 op_sel_hi:[0,0,0] cbsz:4 blgp:4// 00000000398C: D3AC7000 000353AC D3AD8C34 84D23948
	s_add_u32 m0, 0x5280, s64                                  // 00000000399C: 807C40FF 00005280
	buffer_load_dwordx4 v179, s[12:15], 0 offen lds            // 0000000039A4: E05D1000 800300B3
	v_mfma_scale_f32_16x16x128_f8f6f4 a[56:59], v[76:79], v[24:27], a[56:59], v172, v169 op_sel_hi:[0,0,0] cbsz:4 blgp:4// 0000000039AC: D3AC6800 000353AC D3AD8C38 84E2314C
	ds_read_b128 v[64:67], v182 offset:12736                   // 0000000039BC: D9FE31C0 400000B6
	v_mfma_scale_f32_16x16x128_f8f6f4 a[60:63], v[76:79], v[28:31], a[60:63], v172, v169 op_sel_hi:[0,0,0] cbsz:4 blgp:4// 0000000039C4: D3AC7800 000353AC D3AD8C3C 84F2394C
	v_mfma_scale_f32_16x16x128_f8f6f4 a[48:51], v[80:83], v[32:35], a[48:51], v172, v169 op_sel_hi:[0,0,0] cbsz:4 blgp:4// 0000000039D4: D3AC6000 180353AC D3AD8C30 84C24150
	ds_read_b128 v[60:63], v182 offset:13184                   // 0000000039E4: D9FE3380 3C0000B6
	v_mfma_scale_f32_16x16x128_f8f6f4 a[52:55], v[80:83], v[36:39], a[52:55], v172, v169 op_sel_hi:[0,0,0] cbsz:4 blgp:4// 0000000039EC: D3AC7000 180353AC D3AD8C34 84D24950
	buffer_load_dwordx4 v[120:123], v186, s[16:19], 0 offen    // 0000000039FC: E05C1000 800478BA
	v_mfma_scale_f32_16x16x128_f8f6f4 a[56:59], v[84:87], v[32:35], a[56:59], v172, v169 op_sel_hi:[0,0,0] cbsz:4 blgp:4// 000000003A04: D3AC6800 180353AC D3AD8C38 84E24154
	ds_read_b128 v[68:71], v182 offset:13248                   // 000000003A14: D9FE33C0 440000B6
	v_mfma_scale_f32_16x16x128_f8f6f4 a[60:63], v[84:87], v[36:39], a[60:63], v172, v169 op_sel_hi:[0,0,0] cbsz:4 blgp:4// 000000003A1C: D3AC7800 180353AC D3AD8C3C 84F24954
	ds_read_b32 v171, v185 offset:768                          // 000000003A2C: D86C0300 AB0000B9
	s_waitcnt lgkmcnt(5)                                       // 000000003A34: BF8CC57F
	v_mfma_scale_f32_16x16x128_f8f6f4 a[96:99], v[72:75], v[40:43], a[96:99], v172, v170 op_sel_hi:[0,0,0] cbsz:4 blgp:4// 000000003A38: D3AC6000 000355AC D3AD8C60 85825148
	v_mfma_scale_f32_16x16x128_f8f6f4 a[100:103], v[72:75], v[44:47], a[100:103], v172, v170 op_sel_hi:[0,0,0] cbsz:4 blgp:4// 000000003A48: D3AC7000 000355AC D3AD8C64 85925948
	buffer_load_dwordx4 v[124:127], v187, s[16:19], 0 offen    // 000000003A58: E05C1000 80047CBB
	v_mfma_scale_f32_16x16x128_f8f6f4 a[104:107], v[76:79], v[40:43], a[104:107], v172, v170 op_sel_hi:[0,0,0] cbsz:4 blgp:4// 000000003A60: D3AC2800 000355AC D3AD8C68 85A2514C
	v_mfma_scale_f32_16x16x128_f8f6f4 a[108:111], v[76:79], v[44:47], a[108:111], v172, v170 op_sel_hi:[0,0,0] cbsz:4 blgp:4// 000000003A70: D3AC3800 000355AC D3AD8C6C 85B2594C
	v_mfma_scale_f32_16x16x128_f8f6f4 a[96:99], v[80:83], v[48:51], a[96:99], v172, v170 op_sel_hi:[0,0,0] cbsz:4 blgp:4// 000000003A80: D3AC6000 180355AC D3AD8C60 85826150
	v_mfma_scale_f32_16x16x128_f8f6f4 a[100:103], v[80:83], v[52:55], a[100:103], v172, v170 op_sel_hi:[0,0,0] cbsz:4 blgp:4// 000000003A90: D3AC7000 180355AC D3AD8C64 85926950
	buffer_load_dwordx4 v[128:131], v186, s[16:19], 0 offen offset:1024// 000000003AA0: E05C1400 800480BA
	v_mfma_scale_f32_16x16x128_f8f6f4 a[104:107], v[84:87], v[48:51], a[104:107], v172, v170 op_sel_hi:[0,0,0] cbsz:4 blgp:4// 000000003AA8: D3AC6800 180355AC D3AD8C68 85A26154
	v_mfma_scale_f32_16x16x128_f8f6f4 a[108:111], v[84:87], v[52:55], a[108:111], v172, v170 op_sel_hi:[0,0,0] cbsz:4 blgp:4// 000000003AB8: D3AC7800 180355AC D3AD8C6C 85B26954
	s_waitcnt lgkmcnt(0)                                       // 000000003AC8: BF8CC07F
	v_mfma_scale_f32_16x16x128_f8f6f4 a[144:147], v[72:75], v[56:59], a[144:147], v172, v171 op_sel_hi:[0,0,0] cbsz:4 blgp:4// 000000003ACC: D3AC6000 000357AC D3AD8C90 86427148
	v_mfma_scale_f32_16x16x128_f8f6f4 a[148:151], v[72:75], v[60:63], a[148:151], v172, v171 op_sel_hi:[0,0,0] cbsz:4 blgp:4// 000000003ADC: D3AC7000 000357AC D3AD8C94 86527948
	buffer_load_dwordx4 v[132:135], v187, s[16:19], 0 offen offset:1024// 000000003AEC: E05C1400 800484BB
	v_mfma_scale_f32_16x16x128_f8f6f4 a[152:155], v[76:79], v[56:59], a[152:155], v172, v171 op_sel_hi:[0,0,0] cbsz:4 blgp:4// 000000003AF4: D3AC6800 000357AC D3AD8C98 8662714C
	v_mfma_scale_f32_16x16x128_f8f6f4 a[156:159], v[76:79], v[60:63], a[156:159], v172, v171 op_sel_hi:[0,0,0] cbsz:4 blgp:4// 000000003B04: D3AC7800 000357AC D3AD8C9C 8672794C
	v_mfma_scale_f32_16x16x128_f8f6f4 a[144:147], v[80:83], v[64:67], a[144:147], v172, v171 op_sel_hi:[0,0,0] cbsz:4 blgp:4// 000000003B14: D3AC6000 180357AC D3AD8C90 86428150
	v_mfma_scale_f32_16x16x128_f8f6f4 a[148:151], v[80:83], v[68:71], a[148:151], v172, v171 op_sel_hi:[0,0,0] cbsz:4 blgp:4// 000000003B24: D3AC7000 180357AC D3AD8C94 86528950
	buffer_load_dword v175, v192, s[24:27], 0 offen            // 000000003B34: E0501000 8006AFC0
	v_mfma_scale_f32_16x16x128_f8f6f4 a[152:155], v[84:87], v[64:67], a[152:155], v172, v171 op_sel_hi:[0,0,0] cbsz:4 blgp:4// 000000003B3C: D3AC6800 180357AC D3AD8C98 86628154
	v_mfma_scale_f32_16x16x128_f8f6f4 a[156:159], v[84:87], v[68:71], a[156:159], v172, v171 op_sel_hi:[0,0,0] cbsz:4 blgp:4// 000000003B4C: D3AC7800 180357AC D3AD8C9C 86728954
	s_waitcnt vmcnt(13)                                        // 000000003B5C: BF8C0F7D
	v_mfma_scale_f32_16x16x128_f8f6f4 a[16:19], v[88:91], v[8:11], a[16:19], v173, v168 op_sel_hi:[0,0,0] cbsz:4 blgp:4// 000000003B60: D3AC6000 000351AD D3AD8C10 84421158
	v_mfma_scale_f32_16x16x128_f8f6f4 a[20:23], v[88:91], v[12:15], a[20:23], v173, v168 op_sel_hi:[0,0,0] cbsz:4 blgp:4// 000000003B70: D3AC7000 000351AD D3AD8C14 84521958
	s_add_u32 m0, 0x6300, s64                                  // 000000003B80: 807C40FF 00006300
	buffer_load_dwordx4 v180, s[12:15], 0 offen lds            // 000000003B88: E05D1000 800300B4
	v_mfma_scale_f32_16x16x128_f8f6f4 a[24:27], v[92:95], v[8:11], a[24:27], v173, v168 op_sel_hi:[0,0,0] cbsz:4 blgp:4// 000000003B90: D3AC6800 000351AD D3AD8C18 8462115C
	v_mfma_scale_f32_16x16x128_f8f6f4 a[28:31], v[92:95], v[12:15], a[28:31], v173, v168 op_sel_hi:[0,0,0] cbsz:4 blgp:4// 000000003BA0: D3AC7800 000351AD D3AD8C1C 8472195C
	v_mfma_scale_f32_16x16x128_f8f6f4 a[16:19], v[96:99], v[16:19], a[16:19], v173, v168 op_sel_hi:[0,0,0] cbsz:4 blgp:4// 000000003BB0: D3AC6000 180351AD D3AD8C10 84422160
	v_mfma_scale_f32_16x16x128_f8f6f4 a[20:23], v[96:99], v[20:23], a[20:23], v173, v168 op_sel_hi:[0,0,0] cbsz:4 blgp:4// 000000003BC0: D3AC7000 180351AD D3AD8C14 84522960
	s_add_u32 m0, 0x7380, s64                                  // 000000003BD0: 807C40FF 00007380
	buffer_load_dwordx4 v181, s[12:15], 0 offen lds            // 000000003BD8: E05D1000 800300B5
	v_mfma_scale_f32_16x16x128_f8f6f4 a[24:27], v[100:103], v[16:19], a[24:27], v173, v168 op_sel_hi:[0,0,0] cbsz:4 blgp:4// 000000003BE0: D3AC6800 180351AD D3AD8C18 84622164
	s_add_u32 s62, 0x200, s60                                  // 000000003BF0: 803E3CFF 00000200
	s_cmp_lt_u32 s62, s61                                      // 000000003BF8: BF0A3D3E
	v_mfma_scale_f32_16x16x128_f8f6f4 a[28:31], v[100:103], v[20:23], a[28:31], v173, v168 op_sel_hi:[0,0,0] cbsz:4 blgp:4// 000000003BFC: D3AC7800 180351AD D3AD8C1C 84722964
	s_cselect_b32 s66, s66, 0                                  // 000000003C0C: 85428042
	s_cselect_b32 s68, s68, 0                                  // 000000003C10: 85448044
	v_mfma_scale_f32_16x16x128_f8f6f4 a[64:67], v[88:91], v[24:27], a[64:67], v173, v169 op_sel_hi:[0,0,0] cbsz:4 blgp:4// 000000003C14: D3AC6000 000353AD D3AD8C40 85023158
	s_add_u32 s12, s12, s66                                    // 000000003C24: 800C420C
	s_addc_u32 s13, 0, s13                                     // 000000003C28: 820D0D80
	v_mfma_scale_f32_16x16x128_f8f6f4 a[68:71], v[88:91], v[28:31], a[68:71], v173, v169 op_sel_hi:[0,0,0] cbsz:4 blgp:4// 000000003C2C: D3AC7000 000353AD D3AD8C44 85123958
	s_sub_u32 s14, s14, s66                                    // 000000003C3C: 808E420E
	buffer_load_dwordx4 v[136:139], v188, s[16:19], 0 offen    // 000000003C40: E05C1000 800488BC
	v_mfma_scale_f32_16x16x128_f8f6f4 a[72:75], v[92:95], v[24:27], a[72:75], v173, v169 op_sel_hi:[0,0,0] cbsz:4 blgp:4// 000000003C48: D3AC6800 000353AD D3AD8C48 8522315C
	s_add_u32 s20, s20, s68                                    // 000000003C58: 80144414
	s_addc_u32 s21, 0, s21                                     // 000000003C5C: 82151580
	v_mfma_scale_f32_16x16x128_f8f6f4 a[76:79], v[92:95], v[28:31], a[76:79], v173, v169 op_sel_hi:[0,0,0] cbsz:4 blgp:4// 000000003C60: D3AC7800 000353AD D3AD8C4C 8532395C
	s_sub_u32 s22, s22, s68                                    // 000000003C70: 80964416
	v_mfma_scale_f32_16x16x128_f8f6f4 a[64:67], v[96:99], v[32:35], a[64:67], v173, v169 op_sel_hi:[0,0,0] cbsz:4 blgp:4// 000000003C74: D3AC6000 180353AD D3AD8C40 85024160
	v_mfma_scale_f32_16x16x128_f8f6f4 a[68:71], v[96:99], v[36:39], a[68:71], v173, v169 op_sel_hi:[0,0,0] cbsz:4 blgp:4// 000000003C84: D3AC5000 180353AD D3AD8C44 85124960
	buffer_load_dwordx4 v[140:143], v189, s[16:19], 0 offen    // 000000003C94: E05C1000 80048CBD
	v_mfma_scale_f32_16x16x128_f8f6f4 a[72:75], v[100:103], v[32:35], a[72:75], v173, v169 op_sel_hi:[0,0,0] cbsz:4 blgp:4// 000000003C9C: D3AC6800 180353AD D3AD8C48 85224164
	v_mfma_scale_f32_16x16x128_f8f6f4 a[76:79], v[100:103], v[36:39], a[76:79], v173, v169 op_sel_hi:[0,0,0] cbsz:4 blgp:4// 000000003CAC: D3AC7800 180353AD D3AD8C4C 85324964
	v_mfma_scale_f32_16x16x128_f8f6f4 a[112:115], v[88:91], v[40:43], a[112:115], v173, v170 op_sel_hi:[0,0,0] cbsz:4 blgp:4// 000000003CBC: D3AC6000 000355AD D3AD8C70 85C25158
	v_mfma_scale_f32_16x16x128_f8f6f4 a[116:119], v[88:91], v[44:47], a[116:119], v173, v170 op_sel_hi:[0,0,0] cbsz:4 blgp:4// 000000003CCC: D3AC7000 000355AD D3AD8C74 85D25958
	buffer_load_dwordx4 v[144:147], v188, s[16:19], 0 offen offset:1024// 000000003CDC: E05C1400 800490BC
	v_mfma_scale_f32_16x16x128_f8f6f4 a[120:123], v[92:95], v[40:43], a[120:123], v173, v170 op_sel_hi:[0,0,0] cbsz:4 blgp:4// 000000003CE4: D3AC6800 000355AD D3AD8C78 85E2515C
	v_mfma_scale_f32_16x16x128_f8f6f4 a[124:127], v[92:95], v[44:47], a[124:127], v173, v170 op_sel_hi:[0,0,0] cbsz:4 blgp:4// 000000003CF4: D3AC7800 000355AD D3AD8C7C 85F2595C
	v_mfma_scale_f32_16x16x128_f8f6f4 a[112:115], v[96:99], v[48:51], a[112:115], v173, v170 op_sel_hi:[0,0,0] cbsz:4 blgp:4// 000000003D04: D3AC6000 180355AD D3AD8C70 85C26160
	v_mfma_scale_f32_16x16x128_f8f6f4 a[116:119], v[96:99], v[52:55], a[116:119], v173, v170 op_sel_hi:[0,0,0] cbsz:4 blgp:4// 000000003D14: D3AC7000 180355AD D3AD8C74 85D26960
	buffer_load_dwordx4 v[148:151], v189, s[16:19], 0 offen offset:1024// 000000003D24: E05C1400 800494BD
	v_mfma_scale_f32_16x16x128_f8f6f4 a[120:123], v[100:103], v[48:51], a[120:123], v173, v170 op_sel_hi:[0,0,0] cbsz:4 blgp:4// 000000003D2C: D3AC6800 180355AD D3AD8C78 85E26164
	v_mfma_scale_f32_16x16x128_f8f6f4 a[124:127], v[100:103], v[52:55], a[124:127], v173, v170 op_sel_hi:[0,0,0] cbsz:4 blgp:4// 000000003D3C: D3AC7800 180355AD D3AD8C7C 85F26964
	v_mfma_scale_f32_16x16x128_f8f6f4 a[160:163], v[88:91], v[56:59], a[160:163], v173, v171 op_sel_hi:[0,0,0] cbsz:4 blgp:4// 000000003D4C: D3AC6000 000357AD D3AD8CA0 86827158
	v_mfma_scale_f32_16x16x128_f8f6f4 a[164:167], v[88:91], v[60:63], a[164:167], v173, v171 op_sel_hi:[0,0,0] cbsz:4 blgp:4// 000000003D5C: D3AC7000 000357AD D3AD8CA4 86927958
	buffer_load_dword v176, v193, s[24:27], 0 offen            // 000000003D6C: E0501000 8006B0C1
	v_mfma_scale_f32_16x16x128_f8f6f4 a[168:171], v[92:95], v[56:59], a[168:171], v173, v171 op_sel_hi:[0,0,0] cbsz:4 blgp:4// 000000003D74: D3AC6800 000357AD D3AD8CA8 86A2715C
	v_mfma_scale_f32_16x16x128_f8f6f4 a[172:175], v[92:95], v[60:63], a[172:175], v173, v171 op_sel_hi:[0,0,0] cbsz:4 blgp:4// 000000003D84: D3AC7800 000357AD D3AD8CAC 86B2795C
	v_mfma_scale_f32_16x16x128_f8f6f4 a[160:163], v[96:99], v[64:67], a[160:163], v173, v171 op_sel_hi:[0,0,0] cbsz:4 blgp:4// 000000003D94: D3AC6000 180357AD D3AD8CA0 86828160
	v_mfma_scale_f32_16x16x128_f8f6f4 a[164:167], v[96:99], v[68:71], a[164:167], v173, v171 op_sel_hi:[0,0,0] cbsz:4 blgp:4// 000000003DA4: D3AC5000 180357AD D3AD8CA4 86928960
	v_mfma_scale_f32_16x16x128_f8f6f4 a[168:171], v[100:103], v[64:67], a[168:171], v173, v171 op_sel_hi:[0,0,0] cbsz:4 blgp:4// 000000003DB4: D3AC4800 180357AD D3AD8CA8 86A28164
	v_mfma_scale_f32_16x16x128_f8f6f4 a[172:175], v[100:103], v[68:71], a[172:175], v173, v171 op_sel_hi:[0,0,0] cbsz:4 blgp:4// 000000003DC4: D3AC5800 180357AD D3AD8CAC 86B28964
	s_waitcnt vmcnt(15)                                        // 000000003DD4: BF8C0F7F
	v_mfma_scale_f32_16x16x128_f8f6f4 a[32:35], v[104:107], v[8:11], a[32:35], v174, v168 op_sel_hi:[0,0,0] cbsz:4 blgp:4// 000000003DD8: D3AC6000 000351AE D3AD8C20 84821168
	s_add_u32 s63, 0x200, s60                                  // 000000003DE8: 803F3CFF 00000200
	s_cmp_lt_u32 s63, s61                                      // 000000003DF0: BF0A3D3F
	v_mfma_scale_f32_16x16x128_f8f6f4 a[36:39], v[104:107], v[12:15], a[36:39], v174, v168 op_sel_hi:[0,0,0] cbsz:4 blgp:4// 000000003DF4: D3AC7000 000351AE D3AD8C24 84921968
	s_cselect_b32 s67, s67, 0                                  // 000000003E04: 85438043
	buffer_load_dwordx4 v[152:155], v190, s[16:19], 0 offen    // 000000003E08: E05C1000 800498BE
	v_mfma_scale_f32_16x16x128_f8f6f4 a[40:43], v[108:111], v[8:11], a[40:43], v174, v168 op_sel_hi:[0,0,0] cbsz:4 blgp:4// 000000003E10: D3AC6800 000351AE D3AD8C28 84A2116C
	s_cselect_b32 s69, s69, 0                                  // 000000003E20: 85458045
	v_mfma_scale_f32_16x16x128_f8f6f4 a[44:47], v[108:111], v[12:15], a[44:47], v174, v168 op_sel_hi:[0,0,0] cbsz:4 blgp:4// 000000003E24: D3AC5800 000351AE D3AD8C2C 84B2196C
	v_mfma_scale_f32_16x16x128_f8f6f4 a[32:35], v[112:115], v[16:19], a[32:35], v174, v168 op_sel_hi:[0,0,0] cbsz:4 blgp:4// 000000003E34: D3AC4000 180351AE D3AD8C20 84822170
	v_mfma_scale_f32_16x16x128_f8f6f4 a[36:39], v[112:115], v[20:23], a[36:39], v174, v168 op_sel_hi:[0,0,0] cbsz:4 blgp:4// 000000003E44: D3AC5000 180351AE D3AD8C24 84922970
	buffer_load_dwordx4 v[156:159], v191, s[16:19], 0 offen    // 000000003E54: E05C1000 80049CBF
	v_mfma_scale_f32_16x16x128_f8f6f4 a[40:43], v[116:119], v[16:19], a[40:43], v174, v168 op_sel_hi:[0,0,0] cbsz:4 blgp:4// 000000003E5C: D3AC6800 180351AE D3AD8C28 84A22174
	v_mfma_scale_f32_16x16x128_f8f6f4 a[44:47], v[116:119], v[20:23], a[44:47], v174, v168 op_sel_hi:[0,0,0] cbsz:4 blgp:4// 000000003E6C: D3AC5800 180351AE D3AD8C2C 84B22974
	v_mfma_scale_f32_16x16x128_f8f6f4 a[80:83], v[104:107], v[24:27], a[80:83], v174, v169 op_sel_hi:[0,0,0] cbsz:4 blgp:4// 000000003E7C: D3AC4000 000353AE D3AD8C50 85423168
	v_mfma_scale_f32_16x16x128_f8f6f4 a[84:87], v[104:107], v[28:31], a[84:87], v174, v169 op_sel_hi:[0,0,0] cbsz:4 blgp:4// 000000003E8C: D3AC5000 000353AE D3AD8C54 85523968
	buffer_load_dwordx4 v[160:163], v190, s[16:19], 0 offen offset:1024// 000000003E9C: E05C1400 8004A0BE
	v_mfma_scale_f32_16x16x128_f8f6f4 a[88:91], v[108:111], v[24:27], a[88:91], v174, v169 op_sel_hi:[0,0,0] cbsz:4 blgp:4// 000000003EA4: D3AC6800 000353AE D3AD8C58 8562316C
	v_mfma_scale_f32_16x16x128_f8f6f4 a[92:95], v[108:111], v[28:31], a[92:95], v174, v169 op_sel_hi:[0,0,0] cbsz:4 blgp:4// 000000003EB4: D3AC5800 000353AE D3AD8C5C 8572396C
	v_mfma_scale_f32_16x16x128_f8f6f4 a[80:83], v[112:115], v[32:35], a[80:83], v174, v169 op_sel_hi:[0,0,0] cbsz:4 blgp:4// 000000003EC4: D3AC6000 180353AE D3AD8C50 85424170
	v_mfma_scale_f32_16x16x128_f8f6f4 a[84:87], v[112:115], v[36:39], a[84:87], v174, v169 op_sel_hi:[0,0,0] cbsz:4 blgp:4// 000000003ED4: D3AC7000 180353AE D3AD8C54 85524970
	buffer_load_dwordx4 v[164:167], v191, s[16:19], 0 offen offset:1024// 000000003EE4: E05C1400 8004A4BF
	v_mfma_scale_f32_16x16x128_f8f6f4 a[88:91], v[116:119], v[32:35], a[88:91], v174, v169 op_sel_hi:[0,0,0] cbsz:4 blgp:4// 000000003EEC: D3AC2800 180353AE D3AD8C58 85624174
	v_mfma_scale_f32_16x16x128_f8f6f4 a[92:95], v[116:119], v[36:39], a[92:95], v174, v169 op_sel_hi:[0,0,0] cbsz:4 blgp:4// 000000003EFC: D3AC7800 180353AE D3AD8C5C 85724974
	s_waitcnt vmcnt(16)                                        // 000000003F0C: BF8C4F70
	s_barrier                                                  // 000000003F10: BF8A0000
	v_mfma_scale_f32_16x16x128_f8f6f4 a[128:131], v[104:107], v[40:43], a[128:131], v174, v170 op_sel_hi:[0,0,0] cbsz:4 blgp:4// 000000003F14: D3AC2000 000355AE D3AD8C80 86025168
	ds_read_b128 v[8:11], v183                                 // 000000003F24: D9FE0000 080000B7
	v_mfma_scale_f32_16x16x128_f8f6f4 a[132:135], v[104:107], v[44:47], a[132:135], v174, v170 op_sel_hi:[0,0,0] cbsz:4 blgp:4// 000000003F2C: D3AC7000 000355AE D3AD8C84 86125968
	buffer_load_dword v177, v194, s[24:27], 0 offen            // 000000003F3C: E0501000 8006B1C2
	v_mfma_scale_f32_16x16x128_f8f6f4 a[136:139], v[108:111], v[40:43], a[136:139], v174, v170 op_sel_hi:[0,0,0] cbsz:4 blgp:4// 000000003F44: D3AC2800 000355AE D3AD8C88 8622516C
	s_add_u32 s16, s16, s67                                    // 000000003F54: 80104310
	ds_read_b128 v[16:19], v183 offset:64                      // 000000003F58: D9FE0040 100000B7
	v_mfma_scale_f32_16x16x128_f8f6f4 a[140:143], v[108:111], v[44:47], a[140:143], v174, v170 op_sel_hi:[0,0,0] cbsz:4 blgp:4// 000000003F60: D3AC7800 000355AE D3AD8C8C 8632596C
	s_addc_u32 s17, 0, s17                                     // 000000003F70: 82111180
	s_sub_u32 s18, s18, s67                                    // 000000003F74: 80924312
	v_mfma_scale_f32_16x16x128_f8f6f4 a[128:131], v[112:115], v[48:51], a[128:131], v174, v170 op_sel_hi:[0,0,0] cbsz:4 blgp:4// 000000003F78: D3AC6000 180355AE D3AD8C80 86026170
	s_add_u32 s24, s24, s69                                    // 000000003F88: 80184518
	ds_read_b128 v[12:15], v183 offset:512                     // 000000003F8C: D9FE0200 0C0000B7
	v_mfma_scale_f32_16x16x128_f8f6f4 a[132:135], v[112:115], v[52:55], a[132:135], v174, v170 op_sel_hi:[0,0,0] cbsz:4 blgp:4// 000000003F94: D3AC7000 180355AE D3AD8C84 86126970
	s_addc_u32 s25, 0, s25                                     // 000000003FA4: 82191980
	s_sub_u32 s26, s26, s69                                    // 000000003FA8: 809A451A
	v_mfma_scale_f32_16x16x128_f8f6f4 a[136:139], v[116:119], v[48:51], a[136:139], v174, v170 op_sel_hi:[0,0,0] cbsz:4 blgp:4// 000000003FAC: D3AC6800 180355AE D3AD8C88 86226174
	s_addk_i32 s60, 0x100                                      // 000000003FBC: B73C0100
	ds_read_b128 v[20:23], v183 offset:576                     // 000000003FC0: D9FE0240 140000B7
	v_mfma_scale_f32_16x16x128_f8f6f4 a[140:143], v[116:119], v[52:55], a[140:143], v174, v170 op_sel_hi:[0,0,0] cbsz:4 blgp:4// 000000003FC8: D3AC7800 180355AE D3AD8C8C 86326974
	s_cmp_lt_i32 s60, s61                                      // 000000003FD8: BF043D3C
	ds_read_b32 v168, v185 offset:1024                         // 000000003FDC: D86C0400 A80000B9
	v_mfma_scale_f32_16x16x128_f8f6f4 a[176:179], v[104:107], v[56:59], a[176:179], v174, v171 op_sel_hi:[0,0,0] cbsz:4 blgp:4// 000000003FE4: D3AC6000 000357AE D3AD8CB0 86C27168
	ds_read_b128 v[24:27], v183 offset:4224                    // 000000003FF4: D9FE1080 180000B7
	v_mfma_scale_f32_16x16x128_f8f6f4 a[180:183], v[104:107], v[60:63], a[180:183], v174, v171 op_sel_hi:[0,0,0] cbsz:4 blgp:4// 000000003FFC: D3AC7000 000357AE D3AD8CB4 86D27968
	v_mfma_scale_f32_16x16x128_f8f6f4 a[184:187], v[108:111], v[56:59], a[184:187], v174, v171 op_sel_hi:[0,0,0] cbsz:4 blgp:4// 00000000400C: D3AC6800 000357AE D3AD8CB8 86E2716C
	ds_read_b128 v[32:35], v183 offset:4288                    // 00000000401C: D9FE10C0 200000B7
	v_mfma_scale_f32_16x16x128_f8f6f4 a[188:191], v[108:111], v[60:63], a[188:191], v174, v171 op_sel_hi:[0,0,0] cbsz:4 blgp:4// 000000004024: D3AC7800 000357AE D3AD8CBC 86F2796C
	v_mfma_scale_f32_16x16x128_f8f6f4 a[176:179], v[112:115], v[64:67], a[176:179], v174, v171 op_sel_hi:[0,0,0] cbsz:4 blgp:4// 000000004034: D3AC6000 180357AE D3AD8CB0 86C28170
	ds_read_b128 v[28:31], v183 offset:4736                    // 000000004044: D9FE1280 1C0000B7
	v_mfma_scale_f32_16x16x128_f8f6f4 a[180:183], v[112:115], v[68:71], a[180:183], v174, v171 op_sel_hi:[0,0,0] cbsz:4 blgp:4// 00000000404C: D3AC7000 180357AE D3AD8CB4 86D28970
	v_mfma_scale_f32_16x16x128_f8f6f4 a[184:187], v[116:119], v[64:67], a[184:187], v174, v171 op_sel_hi:[0,0,0] cbsz:4 blgp:4// 00000000405C: D3AC6800 180357AE D3AD8CB8 86E28174
	ds_read_b128 v[36:39], v183 offset:4800                    // 00000000406C: D9FE12C0 240000B7
	v_mfma_scale_f32_16x16x128_f8f6f4 a[188:191], v[116:119], v[68:71], a[188:191], v174, v171 op_sel_hi:[0,0,0] cbsz:4 blgp:4// 000000004074: D3AC7800 180357AE D3AD8CBC 86F28974
	ds_read_b32 v169, v185 offset:1280                         // 000000004084: D86C0500 A90000B9
	s_cbranch_scc0 label_0B16                                  // 00000000408C: BF8405F2
	s_waitcnt vmcnt(10) lgkmcnt(5)                             // 000000004090: BF8C057A
	s_barrier                                                  // 000000004094: BF8A0000
	v_mfma_scale_f32_16x16x128_f8f6f4 a[0:3], v[120:123], v[8:11], a[0:3], v175, v168 op_sel_hi:[0,0,0] cbsz:4 blgp:4// 000000004098: D3AC6000 000351AF D3AD8C00 84021178
	ds_read_b128 v[40:43], v183 offset:8448                    // 0000000040A8: D9FE2100 280000B7
	v_mfma_scale_f32_16x16x128_f8f6f4 a[4:7], v[120:123], v[12:15], a[4:7], v175, v168 op_sel_hi:[0,0,0] cbsz:4 blgp:4// 0000000040B0: D3AC7000 000351AF D3AD8C04 84121978
	s_add_u32 m0, 0, s65                                       // 0000000040C0: 807C4180
	buffer_load_dword v184, s[20:23], 0 offen lds              // 0000000040C4: E0511000 800500B8
	v_mfma_scale_f32_16x16x128_f8f6f4 a[8:11], v[124:127], v[8:11], a[8:11], v175, v168 op_sel_hi:[0,0,0] cbsz:4 blgp:4// 0000000040CC: D3AC6800 000351AF D3AD8C08 8422117C
	ds_read_b128 v[48:51], v183 offset:8512                    // 0000000040DC: D9FE2140 300000B7
	v_mfma_scale_f32_16x16x128_f8f6f4 a[12:15], v[124:127], v[12:15], a[12:15], v175, v168 op_sel_hi:[0,0,0] cbsz:4 blgp:4// 0000000040E4: D3AC7800 000351AF D3AD8C0C 8432197C
	v_mfma_scale_f32_16x16x128_f8f6f4 a[0:3], v[128:131], v[16:19], a[0:3], v175, v168 op_sel_hi:[0,0,0] cbsz:4 blgp:4// 0000000040F4: D3AC6000 180351AF D3AD8C00 84022180
	ds_read_b128 v[44:47], v183 offset:8960                    // 000000004104: D9FE2300 2C0000B7
	v_mfma_scale_f32_16x16x128_f8f6f4 a[4:7], v[128:131], v[20:23], a[4:7], v175, v168 op_sel_hi:[0,0,0] cbsz:4 blgp:4// 00000000410C: D3AC7000 180351AF D3AD8C04 84122980
	s_add_u32 m0, 0, s64                                       // 00000000411C: 807C4080
	buffer_load_dwordx4 v178, s[12:15], 0 offen lds            // 000000004120: E05D1000 800300B2
	v_mfma_scale_f32_16x16x128_f8f6f4 a[8:11], v[132:135], v[16:19], a[8:11], v175, v168 op_sel_hi:[0,0,0] cbsz:4 blgp:4// 000000004128: D3AC6800 180351AF D3AD8C08 84222184
	ds_read_b128 v[52:55], v183 offset:9024                    // 000000004138: D9FE2340 340000B7
	v_mfma_scale_f32_16x16x128_f8f6f4 a[12:15], v[132:135], v[20:23], a[12:15], v175, v168 op_sel_hi:[0,0,0] cbsz:4 blgp:4// 000000004140: D3AC7800 180351AF D3AD8C0C 84322984
	ds_read_b32 v170, v185 offset:1536                         // 000000004150: D86C0600 AA0000B9
	s_waitcnt lgkmcnt(5)                                       // 000000004158: BF8CC57F
	v_mfma_scale_f32_16x16x128_f8f6f4 a[48:51], v[120:123], v[24:27], a[48:51], v175, v169 op_sel_hi:[0,0,0] cbsz:4 blgp:4// 00000000415C: D3AC6000 000353AF D3AD8C30 84C23178
	ds_read_b128 v[56:59], v183 offset:12672                   // 00000000416C: D9FE3180 380000B7
	v_mfma_scale_f32_16x16x128_f8f6f4 a[52:55], v[120:123], v[28:31], a[52:55], v175, v169 op_sel_hi:[0,0,0] cbsz:4 blgp:4// 000000004174: D3AC7000 000353AF D3AD8C34 84D23978
	s_add_u32 m0, 0x1080, s64                                  // 000000004184: 807C40FF 00001080
	buffer_load_dwordx4 v179, s[12:15], 0 offen lds            // 00000000418C: E05D1000 800300B3
	v_mfma_scale_f32_16x16x128_f8f6f4 a[56:59], v[124:127], v[24:27], a[56:59], v175, v169 op_sel_hi:[0,0,0] cbsz:4 blgp:4// 000000004194: D3AC0800 000353AF D3AD8C38 84E2317C
	ds_read_b128 v[64:67], v183 offset:12736                   // 0000000041A4: D9FE31C0 400000B7
	v_mfma_scale_f32_16x16x128_f8f6f4 a[60:63], v[124:127], v[28:31], a[60:63], v175, v169 op_sel_hi:[0,0,0] cbsz:4 blgp:4// 0000000041AC: D3AC1800 000353AF D3AD8C3C 84F2397C
	v_mfma_scale_f32_16x16x128_f8f6f4 a[48:51], v[128:131], v[32:35], a[48:51], v175, v169 op_sel_hi:[0,0,0] cbsz:4 blgp:4// 0000000041BC: D3AC0000 180353AF D3AD8C30 84C24180
	ds_read_b128 v[60:63], v183 offset:13184                   // 0000000041CC: D9FE3380 3C0000B7
	v_mfma_scale_f32_16x16x128_f8f6f4 a[52:55], v[128:131], v[36:39], a[52:55], v175, v169 op_sel_hi:[0,0,0] cbsz:4 blgp:4// 0000000041D4: D3AC1000 180353AF D3AD8C34 84D24980
	buffer_load_dwordx4 v[72:75], v186, s[16:19], 0 offen      // 0000000041E4: E05C1000 800448BA
	v_mfma_scale_f32_16x16x128_f8f6f4 a[56:59], v[132:135], v[32:35], a[56:59], v175, v169 op_sel_hi:[0,0,0] cbsz:4 blgp:4// 0000000041EC: D3AC6800 180353AF D3AD8C38 84E24184
	ds_read_b128 v[68:71], v183 offset:13248                   // 0000000041FC: D9FE33C0 440000B7
	v_mfma_scale_f32_16x16x128_f8f6f4 a[60:63], v[132:135], v[36:39], a[60:63], v175, v169 op_sel_hi:[0,0,0] cbsz:4 blgp:4// 000000004204: D3AC7800 180353AF D3AD8C3C 84F24984
	ds_read_b32 v171, v185 offset:1792                         // 000000004214: D86C0700 AB0000B9
	s_waitcnt lgkmcnt(5)                                       // 00000000421C: BF8CC57F
	v_mfma_scale_f32_16x16x128_f8f6f4 a[96:99], v[120:123], v[40:43], a[96:99], v175, v170 op_sel_hi:[0,0,0] cbsz:4 blgp:4// 000000004220: D3AC6000 000355AF D3AD8C60 85825178
	v_mfma_scale_f32_16x16x128_f8f6f4 a[100:103], v[120:123], v[44:47], a[100:103], v175, v170 op_sel_hi:[0,0,0] cbsz:4 blgp:4// 000000004230: D3AC7000 000355AF D3AD8C64 85925978
	buffer_load_dwordx4 v[76:79], v187, s[16:19], 0 offen      // 000000004240: E05C1000 80044CBB
	v_mfma_scale_f32_16x16x128_f8f6f4 a[104:107], v[124:127], v[40:43], a[104:107], v175, v170 op_sel_hi:[0,0,0] cbsz:4 blgp:4// 000000004248: D3AC6800 000355AF D3AD8C68 85A2517C
	v_mfma_scale_f32_16x16x128_f8f6f4 a[108:111], v[124:127], v[44:47], a[108:111], v175, v170 op_sel_hi:[0,0,0] cbsz:4 blgp:4// 000000004258: D3AC7800 000355AF D3AD8C6C 85B2597C
	v_mfma_scale_f32_16x16x128_f8f6f4 a[96:99], v[128:131], v[48:51], a[96:99], v175, v170 op_sel_hi:[0,0,0] cbsz:4 blgp:4// 000000004268: D3AC6000 180355AF D3AD8C60 85826180
	v_mfma_scale_f32_16x16x128_f8f6f4 a[100:103], v[128:131], v[52:55], a[100:103], v175, v170 op_sel_hi:[0,0,0] cbsz:4 blgp:4// 000000004278: D3AC7000 180355AF D3AD8C64 85926980
	buffer_load_dwordx4 v[80:83], v186, s[16:19], 0 offen offset:1024// 000000004288: E05C1400 800450BA
	v_mfma_scale_f32_16x16x128_f8f6f4 a[104:107], v[132:135], v[48:51], a[104:107], v175, v170 op_sel_hi:[0,0,0] cbsz:4 blgp:4// 000000004290: D3AC6800 180355AF D3AD8C68 85A26184
	v_mfma_scale_f32_16x16x128_f8f6f4 a[108:111], v[132:135], v[52:55], a[108:111], v175, v170 op_sel_hi:[0,0,0] cbsz:4 blgp:4// 0000000042A0: D3AC7800 180355AF D3AD8C6C 85B26984
	s_waitcnt lgkmcnt(0)                                       // 0000000042B0: BF8CC07F
	v_mfma_scale_f32_16x16x128_f8f6f4 a[144:147], v[120:123], v[56:59], a[144:147], v175, v171 op_sel_hi:[0,0,0] cbsz:4 blgp:4// 0000000042B4: D3AC6000 000357AF D3AD8C90 86427178
	v_mfma_scale_f32_16x16x128_f8f6f4 a[148:151], v[120:123], v[60:63], a[148:151], v175, v171 op_sel_hi:[0,0,0] cbsz:4 blgp:4// 0000000042C4: D3AC7000 000357AF D3AD8C94 86527978
	buffer_load_dwordx4 v[84:87], v187, s[16:19], 0 offen offset:1024// 0000000042D4: E05C1400 800454BB
	v_mfma_scale_f32_16x16x128_f8f6f4 a[152:155], v[124:127], v[56:59], a[152:155], v175, v171 op_sel_hi:[0,0,0] cbsz:4 blgp:4// 0000000042DC: D3AC6800 000357AF D3AD8C98 8662717C
	v_mfma_scale_f32_16x16x128_f8f6f4 a[156:159], v[124:127], v[60:63], a[156:159], v175, v171 op_sel_hi:[0,0,0] cbsz:4 blgp:4// 0000000042EC: D3AC7800 000357AF D3AD8C9C 8672797C
	v_mfma_scale_f32_16x16x128_f8f6f4 a[144:147], v[128:131], v[64:67], a[144:147], v175, v171 op_sel_hi:[0,0,0] cbsz:4 blgp:4// 0000000042FC: D3AC6000 180357AF D3AD8C90 86428180
	v_mfma_scale_f32_16x16x128_f8f6f4 a[148:151], v[128:131], v[68:71], a[148:151], v175, v171 op_sel_hi:[0,0,0] cbsz:4 blgp:4// 00000000430C: D3AC7000 180357AF D3AD8C94 86528980
	buffer_load_dword v172, v192, s[24:27], 0 offen            // 00000000431C: E0501000 8006ACC0
	v_mfma_scale_f32_16x16x128_f8f6f4 a[152:155], v[132:135], v[64:67], a[152:155], v175, v171 op_sel_hi:[0,0,0] cbsz:4 blgp:4// 000000004324: D3AC6800 180357AF D3AD8C98 86628184
	v_mfma_scale_f32_16x16x128_f8f6f4 a[156:159], v[132:135], v[68:71], a[156:159], v175, v171 op_sel_hi:[0,0,0] cbsz:4 blgp:4// 000000004334: D3AC7800 180357AF D3AD8C9C 86728984
	s_waitcnt vmcnt(13)                                        // 000000004344: BF8C0F7D
	v_mfma_scale_f32_16x16x128_f8f6f4 a[16:19], v[136:139], v[8:11], a[16:19], v176, v168 op_sel_hi:[0,0,0] cbsz:4 blgp:4// 000000004348: D3AC6000 000351B0 D3AD8C10 84421188
	v_mfma_scale_f32_16x16x128_f8f6f4 a[20:23], v[136:139], v[12:15], a[20:23], v176, v168 op_sel_hi:[0,0,0] cbsz:4 blgp:4// 000000004358: D3AC7000 000351B0 D3AD8C14 84521988
	s_add_u32 m0, 0x2100, s64                                  // 000000004368: 807C40FF 00002100
	buffer_load_dwordx4 v180, s[12:15], 0 offen lds            // 000000004370: E05D1000 800300B4
	v_mfma_scale_f32_16x16x128_f8f6f4 a[24:27], v[140:143], v[8:11], a[24:27], v176, v168 op_sel_hi:[0,0,0] cbsz:4 blgp:4// 000000004378: D3AC6800 000351B0 D3AD8C18 8462118C
	v_mfma_scale_f32_16x16x128_f8f6f4 a[28:31], v[140:143], v[12:15], a[28:31], v176, v168 op_sel_hi:[0,0,0] cbsz:4 blgp:4// 000000004388: D3AC7800 000351B0 D3AD8C1C 8472198C
	v_mfma_scale_f32_16x16x128_f8f6f4 a[16:19], v[144:147], v[16:19], a[16:19], v176, v168 op_sel_hi:[0,0,0] cbsz:4 blgp:4// 000000004398: D3AC6000 180351B0 D3AD8C10 84422190
	v_mfma_scale_f32_16x16x128_f8f6f4 a[20:23], v[144:147], v[20:23], a[20:23], v176, v168 op_sel_hi:[0,0,0] cbsz:4 blgp:4// 0000000043A8: D3AC7000 180351B0 D3AD8C14 84522990
	s_add_u32 m0, 0x3180, s64                                  // 0000000043B8: 807C40FF 00003180
	buffer_load_dwordx4 v181, s[12:15], 0 offen lds            // 0000000043C0: E05D1000 800300B5
	v_mfma_scale_f32_16x16x128_f8f6f4 a[24:27], v[148:151], v[16:19], a[24:27], v176, v168 op_sel_hi:[0,0,0] cbsz:4 blgp:4// 0000000043C8: D3AC6800 180351B0 D3AD8C18 84622194
	s_add_u32 s62, 0x200, s60                                  // 0000000043D8: 803E3CFF 00000200
	s_cmp_lt_u32 s62, s61                                      // 0000000043E0: BF0A3D3E
	v_mfma_scale_f32_16x16x128_f8f6f4 a[28:31], v[148:151], v[20:23], a[28:31], v176, v168 op_sel_hi:[0,0,0] cbsz:4 blgp:4// 0000000043E4: D3AC7800 180351B0 D3AD8C1C 84722994
	s_cselect_b32 s66, s66, 0                                  // 0000000043F4: 85428042
	s_cselect_b32 s68, s68, 0                                  // 0000000043F8: 85448044
	v_mfma_scale_f32_16x16x128_f8f6f4 a[64:67], v[136:139], v[24:27], a[64:67], v176, v169 op_sel_hi:[0,0,0] cbsz:4 blgp:4// 0000000043FC: D3AC6000 000353B0 D3AD8C40 85023188
	s_add_u32 s12, s12, s66                                    // 00000000440C: 800C420C
	s_addc_u32 s13, 0, s13                                     // 000000004410: 820D0D80
	v_mfma_scale_f32_16x16x128_f8f6f4 a[68:71], v[136:139], v[28:31], a[68:71], v176, v169 op_sel_hi:[0,0,0] cbsz:4 blgp:4// 000000004414: D3AC7000 000353B0 D3AD8C44 85123988
	s_sub_u32 s14, s14, s66                                    // 000000004424: 808E420E
	buffer_load_dwordx4 v[88:91], v188, s[16:19], 0 offen      // 000000004428: E05C1000 800458BC
	v_mfma_scale_f32_16x16x128_f8f6f4 a[72:75], v[140:143], v[24:27], a[72:75], v176, v169 op_sel_hi:[0,0,0] cbsz:4 blgp:4// 000000004430: D3AC6800 000353B0 D3AD8C48 8522318C
	s_add_u32 s20, s20, s68                                    // 000000004440: 80144414
	s_addc_u32 s21, 0, s21                                     // 000000004444: 82151580
	v_mfma_scale_f32_16x16x128_f8f6f4 a[76:79], v[140:143], v[28:31], a[76:79], v176, v169 op_sel_hi:[0,0,0] cbsz:4 blgp:4// 000000004448: D3AC7800 000353B0 D3AD8C4C 8532398C
	s_sub_u32 s22, s22, s68                                    // 000000004458: 80964416
	v_mfma_scale_f32_16x16x128_f8f6f4 a[64:67], v[144:147], v[32:35], a[64:67], v176, v169 op_sel_hi:[0,0,0] cbsz:4 blgp:4// 00000000445C: D3AC6000 180353B0 D3AD8C40 85024190
	v_mfma_scale_f32_16x16x128_f8f6f4 a[68:71], v[144:147], v[36:39], a[68:71], v176, v169 op_sel_hi:[0,0,0] cbsz:4 blgp:4// 00000000446C: D3AC7000 180353B0 D3AD8C44 85124990
	buffer_load_dwordx4 v[92:95], v189, s[16:19], 0 offen      // 00000000447C: E05C1000 80045CBD
	v_mfma_scale_f32_16x16x128_f8f6f4 a[72:75], v[148:151], v[32:35], a[72:75], v176, v169 op_sel_hi:[0,0,0] cbsz:4 blgp:4// 000000004484: D3AC6800 180353B0 D3AD8C48 85224194
	v_mfma_scale_f32_16x16x128_f8f6f4 a[76:79], v[148:151], v[36:39], a[76:79], v176, v169 op_sel_hi:[0,0,0] cbsz:4 blgp:4// 000000004494: D3AC7800 180353B0 D3AD8C4C 85324994
	v_mfma_scale_f32_16x16x128_f8f6f4 a[112:115], v[136:139], v[40:43], a[112:115], v176, v170 op_sel_hi:[0,0,0] cbsz:4 blgp:4// 0000000044A4: D3AC6000 000355B0 D3AD8C70 85C25188
	v_mfma_scale_f32_16x16x128_f8f6f4 a[116:119], v[136:139], v[44:47], a[116:119], v176, v170 op_sel_hi:[0,0,0] cbsz:4 blgp:4// 0000000044B4: D3AC7000 000355B0 D3AD8C74 85D25988
	buffer_load_dwordx4 v[96:99], v188, s[16:19], 0 offen offset:1024// 0000000044C4: E05C1400 800460BC
	v_mfma_scale_f32_16x16x128_f8f6f4 a[120:123], v[140:143], v[40:43], a[120:123], v176, v170 op_sel_hi:[0,0,0] cbsz:4 blgp:4// 0000000044CC: D3AC6800 000355B0 D3AD8C78 85E2518C
	v_mfma_scale_f32_16x16x128_f8f6f4 a[124:127], v[140:143], v[44:47], a[124:127], v176, v170 op_sel_hi:[0,0,0] cbsz:4 blgp:4// 0000000044DC: D3AC7800 000355B0 D3AD8C7C 85F2598C
	v_mfma_scale_f32_16x16x128_f8f6f4 a[112:115], v[144:147], v[48:51], a[112:115], v176, v170 op_sel_hi:[0,0,0] cbsz:4 blgp:4// 0000000044EC: D3AC6000 180355B0 D3AD8C70 85C26190
	v_mfma_scale_f32_16x16x128_f8f6f4 a[116:119], v[144:147], v[52:55], a[116:119], v176, v170 op_sel_hi:[0,0,0] cbsz:4 blgp:4// 0000000044FC: D3AC7000 180355B0 D3AD8C74 85D26990
	buffer_load_dwordx4 v[100:103], v189, s[16:19], 0 offen offset:1024// 00000000450C: E05C1400 800464BD
	v_mfma_scale_f32_16x16x128_f8f6f4 a[120:123], v[148:151], v[48:51], a[120:123], v176, v170 op_sel_hi:[0,0,0] cbsz:4 blgp:4// 000000004514: D3AC6800 180355B0 D3AD8C78 85E26194
	v_mfma_scale_f32_16x16x128_f8f6f4 a[124:127], v[148:151], v[52:55], a[124:127], v176, v170 op_sel_hi:[0,0,0] cbsz:4 blgp:4// 000000004524: D3AC7800 180355B0 D3AD8C7C 85F26994
	v_mfma_scale_f32_16x16x128_f8f6f4 a[160:163], v[136:139], v[56:59], a[160:163], v176, v171 op_sel_hi:[0,0,0] cbsz:4 blgp:4// 000000004534: D3AC6000 000357B0 D3AD8CA0 86827188
	v_mfma_scale_f32_16x16x128_f8f6f4 a[164:167], v[136:139], v[60:63], a[164:167], v176, v171 op_sel_hi:[0,0,0] cbsz:4 blgp:4// 000000004544: D3AC7000 000357B0 D3AD8CA4 86927988
	buffer_load_dword v173, v193, s[24:27], 0 offen            // 000000004554: E0501000 8006ADC1
	v_mfma_scale_f32_16x16x128_f8f6f4 a[168:171], v[140:143], v[56:59], a[168:171], v176, v171 op_sel_hi:[0,0,0] cbsz:4 blgp:4// 00000000455C: D3AC6800 000357B0 D3AD8CA8 86A2718C
	v_mfma_scale_f32_16x16x128_f8f6f4 a[172:175], v[140:143], v[60:63], a[172:175], v176, v171 op_sel_hi:[0,0,0] cbsz:4 blgp:4// 00000000456C: D3AC7800 000357B0 D3AD8CAC 86B2798C
	v_mfma_scale_f32_16x16x128_f8f6f4 a[160:163], v[144:147], v[64:67], a[160:163], v176, v171 op_sel_hi:[0,0,0] cbsz:4 blgp:4// 00000000457C: D3AC6000 180357B0 D3AD8CA0 86828190
	v_mfma_scale_f32_16x16x128_f8f6f4 a[164:167], v[144:147], v[68:71], a[164:167], v176, v171 op_sel_hi:[0,0,0] cbsz:4 blgp:4// 00000000458C: D3AC7000 180357B0 D3AD8CA4 86928990
	v_mfma_scale_f32_16x16x128_f8f6f4 a[168:171], v[148:151], v[64:67], a[168:171], v176, v171 op_sel_hi:[0,0,0] cbsz:4 blgp:4// 00000000459C: D3AC6800 180357B0 D3AD8CA8 86A28194
	v_mfma_scale_f32_16x16x128_f8f6f4 a[172:175], v[148:151], v[68:71], a[172:175], v176, v171 op_sel_hi:[0,0,0] cbsz:4 blgp:4// 0000000045AC: D3AC7800 180357B0 D3AD8CAC 86B28994
	s_waitcnt vmcnt(15)                                        // 0000000045BC: BF8C0F7F
	v_mfma_scale_f32_16x16x128_f8f6f4 a[32:35], v[152:155], v[8:11], a[32:35], v177, v168 op_sel_hi:[0,0,0] cbsz:4 blgp:4// 0000000045C0: D3AC6000 000351B1 D3AD8C20 84821198
	s_add_u32 s63, 0x200, s60                                  // 0000000045D0: 803F3CFF 00000200
	s_cmp_lt_u32 s63, s61                                      // 0000000045D8: BF0A3D3F
	v_mfma_scale_f32_16x16x128_f8f6f4 a[36:39], v[152:155], v[12:15], a[36:39], v177, v168 op_sel_hi:[0,0,0] cbsz:4 blgp:4// 0000000045DC: D3AC7000 000351B1 D3AD8C24 84921998
	s_cselect_b32 s67, s67, 0                                  // 0000000045EC: 85438043
	buffer_load_dwordx4 v[104:107], v190, s[16:19], 0 offen    // 0000000045F0: E05C1000 800468BE
	v_mfma_scale_f32_16x16x128_f8f6f4 a[40:43], v[156:159], v[8:11], a[40:43], v177, v168 op_sel_hi:[0,0,0] cbsz:4 blgp:4// 0000000045F8: D3AC6800 000351B1 D3AD8C28 84A2119C
	s_cselect_b32 s69, s69, 0                                  // 000000004608: 85458045
	v_mfma_scale_f32_16x16x128_f8f6f4 a[44:47], v[156:159], v[12:15], a[44:47], v177, v168 op_sel_hi:[0,0,0] cbsz:4 blgp:4// 00000000460C: D3AC7800 000351B1 D3AD8C2C 84B2199C
	v_mfma_scale_f32_16x16x128_f8f6f4 a[32:35], v[160:163], v[16:19], a[32:35], v177, v168 op_sel_hi:[0,0,0] cbsz:4 blgp:4// 00000000461C: D3AC6000 180351B1 D3AD8C20 848221A0
	v_mfma_scale_f32_16x16x128_f8f6f4 a[36:39], v[160:163], v[20:23], a[36:39], v177, v168 op_sel_hi:[0,0,0] cbsz:4 blgp:4// 00000000462C: D3AC7000 180351B1 D3AD8C24 849229A0
	buffer_load_dwordx4 v[108:111], v191, s[16:19], 0 offen    // 00000000463C: E05C1000 80046CBF
	v_mfma_scale_f32_16x16x128_f8f6f4 a[40:43], v[164:167], v[16:19], a[40:43], v177, v168 op_sel_hi:[0,0,0] cbsz:4 blgp:4// 000000004644: D3AC6800 180351B1 D3AD8C28 84A221A4
	v_mfma_scale_f32_16x16x128_f8f6f4 a[44:47], v[164:167], v[20:23], a[44:47], v177, v168 op_sel_hi:[0,0,0] cbsz:4 blgp:4// 000000004654: D3AC7800 180351B1 D3AD8C2C 84B229A4
	v_mfma_scale_f32_16x16x128_f8f6f4 a[80:83], v[152:155], v[24:27], a[80:83], v177, v169 op_sel_hi:[0,0,0] cbsz:4 blgp:4// 000000004664: D3AC6000 000353B1 D3AD8C50 85423198
	v_mfma_scale_f32_16x16x128_f8f6f4 a[84:87], v[152:155], v[28:31], a[84:87], v177, v169 op_sel_hi:[0,0,0] cbsz:4 blgp:4// 000000004674: D3AC7000 000353B1 D3AD8C54 85523998
	buffer_load_dwordx4 v[112:115], v190, s[16:19], 0 offen offset:1024// 000000004684: E05C1400 800470BE
	v_mfma_scale_f32_16x16x128_f8f6f4 a[88:91], v[156:159], v[24:27], a[88:91], v177, v169 op_sel_hi:[0,0,0] cbsz:4 blgp:4// 00000000468C: D3AC6800 000353B1 D3AD8C58 8562319C
	v_mfma_scale_f32_16x16x128_f8f6f4 a[92:95], v[156:159], v[28:31], a[92:95], v177, v169 op_sel_hi:[0,0,0] cbsz:4 blgp:4// 00000000469C: D3AC7800 000353B1 D3AD8C5C 8572399C
	v_mfma_scale_f32_16x16x128_f8f6f4 a[80:83], v[160:163], v[32:35], a[80:83], v177, v169 op_sel_hi:[0,0,0] cbsz:4 blgp:4// 0000000046AC: D3AC6000 180353B1 D3AD8C50 854241A0
	v_mfma_scale_f32_16x16x128_f8f6f4 a[84:87], v[160:163], v[36:39], a[84:87], v177, v169 op_sel_hi:[0,0,0] cbsz:4 blgp:4// 0000000046BC: D3AC7000 180353B1 D3AD8C54 855249A0
	buffer_load_dwordx4 v[116:119], v191, s[16:19], 0 offen offset:1024// 0000000046CC: E05C1400 800474BF
	v_mfma_scale_f32_16x16x128_f8f6f4 a[88:91], v[164:167], v[32:35], a[88:91], v177, v169 op_sel_hi:[0,0,0] cbsz:4 blgp:4// 0000000046D4: D3AC6800 180353B1 D3AD8C58 856241A4
	v_mfma_scale_f32_16x16x128_f8f6f4 a[92:95], v[164:167], v[36:39], a[92:95], v177, v169 op_sel_hi:[0,0,0] cbsz:4 blgp:4// 0000000046E4: D3AC7800 180353B1 D3AD8C5C 857249A4
	s_waitcnt vmcnt(16)                                        // 0000000046F4: BF8C4F70
	s_barrier                                                  // 0000000046F8: BF8A0000
	v_mfma_scale_f32_16x16x128_f8f6f4 a[128:131], v[152:155], v[40:43], a[128:131], v177, v170 op_sel_hi:[0,0,0] cbsz:4 blgp:4// 0000000046FC: D3AC0000 000355B1 D3AD8C80 86025198
	ds_read_b128 v[8:11], v182                                 // 00000000470C: D9FE0000 080000B6
	v_mfma_scale_f32_16x16x128_f8f6f4 a[132:135], v[152:155], v[44:47], a[132:135], v177, v170 op_sel_hi:[0,0,0] cbsz:4 blgp:4// 000000004714: D3AC7000 000355B1 D3AD8C84 86125998
	buffer_load_dword v174, v194, s[24:27], 0 offen            // 000000004724: E0501000 8006AEC2
	v_mfma_scale_f32_16x16x128_f8f6f4 a[136:139], v[156:159], v[40:43], a[136:139], v177, v170 op_sel_hi:[0,0,0] cbsz:4 blgp:4// 00000000472C: D3AC6800 000355B1 D3AD8C88 8622519C
	s_add_u32 s16, s16, s67                                    // 00000000473C: 80104310
	ds_read_b128 v[16:19], v182 offset:64                      // 000000004740: D9FE0040 100000B6
	v_mfma_scale_f32_16x16x128_f8f6f4 a[140:143], v[156:159], v[44:47], a[140:143], v177, v170 op_sel_hi:[0,0,0] cbsz:4 blgp:4// 000000004748: D3AC7800 000355B1 D3AD8C8C 8632599C
	s_addc_u32 s17, 0, s17                                     // 000000004758: 82111180
	s_sub_u32 s18, s18, s67                                    // 00000000475C: 80924312
	v_mfma_scale_f32_16x16x128_f8f6f4 a[128:131], v[160:163], v[48:51], a[128:131], v177, v170 op_sel_hi:[0,0,0] cbsz:4 blgp:4// 000000004760: D3AC6000 180355B1 D3AD8C80 860261A0
	s_add_u32 s24, s24, s69                                    // 000000004770: 80184518
	ds_read_b128 v[12:15], v182 offset:512                     // 000000004774: D9FE0200 0C0000B6
	v_mfma_scale_f32_16x16x128_f8f6f4 a[132:135], v[160:163], v[52:55], a[132:135], v177, v170 op_sel_hi:[0,0,0] cbsz:4 blgp:4// 00000000477C: D3AC7000 180355B1 D3AD8C84 861269A0
	s_addc_u32 s25, 0, s25                                     // 00000000478C: 82191980
	s_sub_u32 s26, s26, s69                                    // 000000004790: 809A451A
	v_mfma_scale_f32_16x16x128_f8f6f4 a[136:139], v[164:167], v[48:51], a[136:139], v177, v170 op_sel_hi:[0,0,0] cbsz:4 blgp:4// 000000004794: D3AC6800 180355B1 D3AD8C88 862261A4
	s_addk_i32 s60, 0x100                                      // 0000000047A4: B73C0100
	ds_read_b128 v[20:23], v182 offset:576                     // 0000000047A8: D9FE0240 140000B6
	v_mfma_scale_f32_16x16x128_f8f6f4 a[140:143], v[164:167], v[52:55], a[140:143], v177, v170 op_sel_hi:[0,0,0] cbsz:4 blgp:4// 0000000047B0: D3AC1800 180355B1 D3AD8C8C 863269A4
	s_cmp_lt_i32 s60, s61                                      // 0000000047C0: BF043D3C
	ds_read_b32 v168, v185                                     // 0000000047C4: D86C0000 A80000B9
	v_mfma_scale_f32_16x16x128_f8f6f4 a[176:179], v[152:155], v[56:59], a[176:179], v177, v171 op_sel_hi:[0,0,0] cbsz:4 blgp:4// 0000000047CC: D3AC6000 000357B1 D3AD8CB0 86C27198
	ds_read_b128 v[24:27], v182 offset:4224                    // 0000000047DC: D9FE1080 180000B6
	v_mfma_scale_f32_16x16x128_f8f6f4 a[180:183], v[152:155], v[60:63], a[180:183], v177, v171 op_sel_hi:[0,0,0] cbsz:4 blgp:4// 0000000047E4: D3AC7000 000357B1 D3AD8CB4 86D27998
	v_mfma_scale_f32_16x16x128_f8f6f4 a[184:187], v[156:159], v[56:59], a[184:187], v177, v171 op_sel_hi:[0,0,0] cbsz:4 blgp:4// 0000000047F4: D3AC6800 000357B1 D3AD8CB8 86E2719C
	ds_read_b128 v[32:35], v182 offset:4288                    // 000000004804: D9FE10C0 200000B6
	v_mfma_scale_f32_16x16x128_f8f6f4 a[188:191], v[156:159], v[60:63], a[188:191], v177, v171 op_sel_hi:[0,0,0] cbsz:4 blgp:4// 00000000480C: D3AC7800 000357B1 D3AD8CBC 86F2799C
	v_mfma_scale_f32_16x16x128_f8f6f4 a[176:179], v[160:163], v[64:67], a[176:179], v177, v171 op_sel_hi:[0,0,0] cbsz:4 blgp:4// 00000000481C: D3AC6000 180357B1 D3AD8CB0 86C281A0
	ds_read_b128 v[28:31], v182 offset:4736                    // 00000000482C: D9FE1280 1C0000B6
	v_mfma_scale_f32_16x16x128_f8f6f4 a[180:183], v[160:163], v[68:71], a[180:183], v177, v171 op_sel_hi:[0,0,0] cbsz:4 blgp:4// 000000004834: D3AC7000 180357B1 D3AD8CB4 86D289A0
	v_mfma_scale_f32_16x16x128_f8f6f4 a[184:187], v[164:167], v[64:67], a[184:187], v177, v171 op_sel_hi:[0,0,0] cbsz:4 blgp:4// 000000004844: D3AC6800 180357B1 D3AD8CB8 86E281A4
	ds_read_b128 v[36:39], v182 offset:4800                    // 000000004854: D9FE12C0 240000B6
	v_mfma_scale_f32_16x16x128_f8f6f4 a[188:191], v[164:167], v[68:71], a[188:191], v177, v171 op_sel_hi:[0,0,0] cbsz:4 blgp:4// 00000000485C: D3AC7800 180357B1 D3AD8CBC 86F289A4
	ds_read_b32 v169, v185 offset:256                          // 00000000486C: D86C0100 A90000B9
	s_cbranch_scc0 label_0B16                                  // 000000004874: BF8403F8
	s_branch label_0328                                        // 000000004878: BF82FC09

000000000000487c <label_071F>:
	s_waitcnt vmcnt(10) lgkmcnt(5)                             // 00000000487C: BF8C057A
	s_barrier                                                  // 000000004880: BF8A0000
	v_mfma_scale_f32_16x16x128_f8f6f4 a[0:3], v[72:75], v[8:11], a[0:3], v172, v168 op_sel_hi:[0,0,0] cbsz:4 blgp:4// 000000004884: D3AC6000 000351AC D3AD8C00 84021148
	s_add_u32 m0, 0x400, s65                                   // 000000004894: 807C41FF 00000400
	buffer_load_dword v184, s[20:23], 0 offen lds              // 00000000489C: E0511000 800500B8
	v_mfma_scale_f32_16x16x128_f8f6f4 a[4:7], v[72:75], v[12:15], a[4:7], v172, v168 op_sel_hi:[0,0,0] cbsz:4 blgp:4// 0000000048A4: D3AC7000 000351AC D3AD8C04 84121948
	ds_read_b128 v[40:43], v182 offset:8448                    // 0000000048B4: D9FE2100 280000B6
	v_mfma_scale_f32_16x16x128_f8f6f4 a[8:11], v[76:79], v[8:11], a[8:11], v172, v168 op_sel_hi:[0,0,0] cbsz:4 blgp:4// 0000000048BC: D3AC6800 000351AC D3AD8C08 8422114C
	v_mfma_scale_f32_16x16x128_f8f6f4 a[12:15], v[76:79], v[12:15], a[12:15], v172, v168 op_sel_hi:[0,0,0] cbsz:4 blgp:4// 0000000048CC: D3AC7800 000351AC D3AD8C0C 8432194C
	ds_read_b128 v[48:51], v182 offset:8512                    // 0000000048DC: D9FE2140 300000B6
	v_mfma_scale_f32_16x16x128_f8f6f4 a[0:3], v[80:83], v[16:19], a[0:3], v172, v168 op_sel_hi:[0,0,0] cbsz:4 blgp:4// 0000000048E4: D3AC6000 180351AC D3AD8C00 84022150
	s_add_u32 m0, 0x4200, s64                                  // 0000000048F4: 807C40FF 00004200
	buffer_load_dwordx4 v178, s[12:15], 0 offen lds            // 0000000048FC: E05D1000 800300B2
	v_mfma_scale_f32_16x16x128_f8f6f4 a[4:7], v[80:83], v[20:23], a[4:7], v172, v168 op_sel_hi:[0,0,0] cbsz:4 blgp:4// 000000004904: D3AC7000 180351AC D3AD8C04 84122950
	ds_read_b128 v[44:47], v182 offset:8960                    // 000000004914: D9FE2300 2C0000B6
	v_mfma_scale_f32_16x16x128_f8f6f4 a[8:11], v[84:87], v[16:19], a[8:11], v172, v168 op_sel_hi:[0,0,0] cbsz:4 blgp:4// 00000000491C: D3AC6800 180351AC D3AD8C08 84222154
	v_mfma_scale_f32_16x16x128_f8f6f4 a[12:15], v[84:87], v[20:23], a[12:15], v172, v168 op_sel_hi:[0,0,0] cbsz:4 blgp:4// 00000000492C: D3AC7800 180351AC D3AD8C0C 84322954
	ds_read_b128 v[52:55], v182 offset:9024                    // 00000000493C: D9FE2340 340000B6
	ds_read_b32 v170, v185 offset:512                          // 000000004944: D86C0200 AA0000B9
	s_waitcnt lgkmcnt(5)                                       // 00000000494C: BF8CC57F
	v_mfma_scale_f32_16x16x128_f8f6f4 a[48:51], v[72:75], v[24:27], a[48:51], v172, v169 op_sel_hi:[0,0,0] cbsz:4 blgp:4// 000000004950: D3AC6000 000353AC D3AD8C30 84C23148
	s_add_u32 m0, 0x5280, s64                                  // 000000004960: 807C40FF 00005280
	buffer_load_dwordx4 v179, s[12:15], 0 offen lds            // 000000004968: E05D1000 800300B3
	v_mfma_scale_f32_16x16x128_f8f6f4 a[52:55], v[72:75], v[28:31], a[52:55], v172, v169 op_sel_hi:[0,0,0] cbsz:4 blgp:4// 000000004970: D3AC7000 000353AC D3AD8C34 84D23948
	ds_read_b128 v[56:59], v182 offset:12672                   // 000000004980: D9FE3180 380000B6
	v_mfma_scale_f32_16x16x128_f8f6f4 a[56:59], v[76:79], v[24:27], a[56:59], v172, v169 op_sel_hi:[0,0,0] cbsz:4 blgp:4// 000000004988: D3AC6800 000353AC D3AD8C38 84E2314C
	v_mfma_scale_f32_16x16x128_f8f6f4 a[60:63], v[76:79], v[28:31], a[60:63], v172, v169 op_sel_hi:[0,0,0] cbsz:4 blgp:4// 000000004998: D3AC7800 000353AC D3AD8C3C 84F2394C
	ds_read_b128 v[64:67], v182 offset:12736                   // 0000000049A8: D9FE31C0 400000B6
	v_mfma_scale_f32_16x16x128_f8f6f4 a[48:51], v[80:83], v[32:35], a[48:51], v172, v169 op_sel_hi:[0,0,0] cbsz:4 blgp:4// 0000000049B0: D3AC6000 180353AC D3AD8C30 84C24150
	buffer_load_dwordx4 v[120:123], v186, s[16:19], 0 offen    // 0000000049C0: E05C1000 800478BA
	v_mfma_scale_f32_16x16x128_f8f6f4 a[52:55], v[80:83], v[36:39], a[52:55], v172, v169 op_sel_hi:[0,0,0] cbsz:4 blgp:4// 0000000049C8: D3AC7000 180353AC D3AD8C34 84D24950
	ds_read_b128 v[60:63], v182 offset:13184                   // 0000000049D8: D9FE3380 3C0000B6
	v_mfma_scale_f32_16x16x128_f8f6f4 a[56:59], v[84:87], v[32:35], a[56:59], v172, v169 op_sel_hi:[0,0,0] cbsz:4 blgp:4// 0000000049E0: D3AC6800 180353AC D3AD8C38 84E24154
	v_mfma_scale_f32_16x16x128_f8f6f4 a[60:63], v[84:87], v[36:39], a[60:63], v172, v169 op_sel_hi:[0,0,0] cbsz:4 blgp:4// 0000000049F0: D3AC7800 180353AC D3AD8C3C 84F24954
	ds_read_b128 v[68:71], v182 offset:13248                   // 000000004A00: D9FE33C0 440000B6
	ds_read_b32 v171, v185 offset:768                          // 000000004A08: D86C0300 AB0000B9
	s_waitcnt lgkmcnt(5)                                       // 000000004A10: BF8CC57F
	v_mfma_scale_f32_16x16x128_f8f6f4 a[96:99], v[72:75], v[40:43], a[96:99], v172, v170 op_sel_hi:[0,0,0] cbsz:4 blgp:4// 000000004A14: D3AC6000 000355AC D3AD8C60 85825148
	buffer_load_dwordx4 v[124:127], v187, s[16:19], 0 offen    // 000000004A24: E05C1000 80047CBB
	v_mfma_scale_f32_16x16x128_f8f6f4 a[100:103], v[72:75], v[44:47], a[100:103], v172, v170 op_sel_hi:[0,0,0] cbsz:4 blgp:4// 000000004A2C: D3AC7000 000355AC D3AD8C64 85925948
	v_mfma_scale_f32_16x16x128_f8f6f4 a[104:107], v[76:79], v[40:43], a[104:107], v172, v170 op_sel_hi:[0,0,0] cbsz:4 blgp:4// 000000004A3C: D3AC6800 000355AC D3AD8C68 85A2514C
	v_mfma_scale_f32_16x16x128_f8f6f4 a[108:111], v[76:79], v[44:47], a[108:111], v172, v170 op_sel_hi:[0,0,0] cbsz:4 blgp:4// 000000004A4C: D3AC7800 000355AC D3AD8C6C 85B2594C
	v_mfma_scale_f32_16x16x128_f8f6f4 a[96:99], v[80:83], v[48:51], a[96:99], v172, v170 op_sel_hi:[0,0,0] cbsz:4 blgp:4// 000000004A5C: D3AC6000 180355AC D3AD8C60 85826150
	buffer_load_dwordx4 v[128:131], v186, s[16:19], 0 offen offset:1024// 000000004A6C: E05C1400 800480BA
	v_mfma_scale_f32_16x16x128_f8f6f4 a[100:103], v[80:83], v[52:55], a[100:103], v172, v170 op_sel_hi:[0,0,0] cbsz:4 blgp:4// 000000004A74: D3AC7000 180355AC D3AD8C64 85926950
	v_mfma_scale_f32_16x16x128_f8f6f4 a[104:107], v[84:87], v[48:51], a[104:107], v172, v170 op_sel_hi:[0,0,0] cbsz:4 blgp:4// 000000004A84: D3AC6800 180355AC D3AD8C68 85A26154
	v_mfma_scale_f32_16x16x128_f8f6f4 a[108:111], v[84:87], v[52:55], a[108:111], v172, v170 op_sel_hi:[0,0,0] cbsz:4 blgp:4// 000000004A94: D3AC7800 180355AC D3AD8C6C 85B26954
	s_waitcnt lgkmcnt(0)                                       // 000000004AA4: BF8CC07F
	v_mfma_scale_f32_16x16x128_f8f6f4 a[144:147], v[72:75], v[56:59], a[144:147], v172, v171 op_sel_hi:[0,0,0] cbsz:4 blgp:4// 000000004AA8: D3AC6000 000357AC D3AD8C90 86427148
	buffer_load_dwordx4 v[132:135], v187, s[16:19], 0 offen offset:1024// 000000004AB8: E05C1400 800484BB
	v_mfma_scale_f32_16x16x128_f8f6f4 a[148:151], v[72:75], v[60:63], a[148:151], v172, v171 op_sel_hi:[0,0,0] cbsz:4 blgp:4// 000000004AC0: D3AC7000 000357AC D3AD8C94 86527948
	v_mfma_scale_f32_16x16x128_f8f6f4 a[152:155], v[76:79], v[56:59], a[152:155], v172, v171 op_sel_hi:[0,0,0] cbsz:4 blgp:4// 000000004AD0: D3AC6800 000357AC D3AD8C98 8662714C
	v_mfma_scale_f32_16x16x128_f8f6f4 a[156:159], v[76:79], v[60:63], a[156:159], v172, v171 op_sel_hi:[0,0,0] cbsz:4 blgp:4// 000000004AE0: D3AC7800 000357AC D3AD8C9C 8672794C
	v_mfma_scale_f32_16x16x128_f8f6f4 a[144:147], v[80:83], v[64:67], a[144:147], v172, v171 op_sel_hi:[0,0,0] cbsz:4 blgp:4// 000000004AF0: D3AC6000 180357AC D3AD8C90 86428150
	buffer_load_dword v175, v192, s[24:27], 0 offen            // 000000004B00: E0501000 8006AFC0
	v_mfma_scale_f32_16x16x128_f8f6f4 a[148:151], v[80:83], v[68:71], a[148:151], v172, v171 op_sel_hi:[0,0,0] cbsz:4 blgp:4// 000000004B08: D3AC7000 180357AC D3AD8C94 86528950
	v_mfma_scale_f32_16x16x128_f8f6f4 a[152:155], v[84:87], v[64:67], a[152:155], v172, v171 op_sel_hi:[0,0,0] cbsz:4 blgp:4// 000000004B18: D3AC6800 180357AC D3AD8C98 86628154
	v_mfma_scale_f32_16x16x128_f8f6f4 a[156:159], v[84:87], v[68:71], a[156:159], v172, v171 op_sel_hi:[0,0,0] cbsz:4 blgp:4// 000000004B28: D3AC7800 180357AC D3AD8C9C 86728954
	s_waitcnt vmcnt(13)                                        // 000000004B38: BF8C0F7D
	v_mfma_scale_f32_16x16x128_f8f6f4 a[16:19], v[88:91], v[8:11], a[16:19], v173, v168 op_sel_hi:[0,0,0] cbsz:4 blgp:4// 000000004B3C: D3AC6000 000351AD D3AD8C10 84421158
	s_add_u32 m0, 0x6300, s64                                  // 000000004B4C: 807C40FF 00006300
	buffer_load_dwordx4 v180, s[12:15], 0 offen lds            // 000000004B54: E05D1000 800300B4
	v_mfma_scale_f32_16x16x128_f8f6f4 a[20:23], v[88:91], v[12:15], a[20:23], v173, v168 op_sel_hi:[0,0,0] cbsz:4 blgp:4// 000000004B5C: D3AC7000 000351AD D3AD8C14 84521958
	v_mfma_scale_f32_16x16x128_f8f6f4 a[24:27], v[92:95], v[8:11], a[24:27], v173, v168 op_sel_hi:[0,0,0] cbsz:4 blgp:4// 000000004B6C: D3AC6800 000351AD D3AD8C18 8462115C
	v_mfma_scale_f32_16x16x128_f8f6f4 a[28:31], v[92:95], v[12:15], a[28:31], v173, v168 op_sel_hi:[0,0,0] cbsz:4 blgp:4// 000000004B7C: D3AC7800 000351AD D3AD8C1C 8472195C
	v_mfma_scale_f32_16x16x128_f8f6f4 a[16:19], v[96:99], v[16:19], a[16:19], v173, v168 op_sel_hi:[0,0,0] cbsz:4 blgp:4// 000000004B8C: D3AC6000 180351AD D3AD8C10 84422160
	s_add_u32 m0, 0x7380, s64                                  // 000000004B9C: 807C40FF 00007380
	buffer_load_dwordx4 v181, s[12:15], 0 offen lds            // 000000004BA4: E05D1000 800300B5
	v_mfma_scale_f32_16x16x128_f8f6f4 a[20:23], v[96:99], v[20:23], a[20:23], v173, v168 op_sel_hi:[0,0,0] cbsz:4 blgp:4// 000000004BAC: D3AC7000 180351AD D3AD8C14 84522960
	s_add_u32 s62, 0x200, s60                                  // 000000004BBC: 803E3CFF 00000200
	s_cmp_lt_u32 s62, s61                                      // 000000004BC4: BF0A3D3E
	v_mfma_scale_f32_16x16x128_f8f6f4 a[24:27], v[100:103], v[16:19], a[24:27], v173, v168 op_sel_hi:[0,0,0] cbsz:4 blgp:4// 000000004BC8: D3AC6800 180351AD D3AD8C18 84622164
	s_cselect_b32 s66, s66, 0                                  // 000000004BD8: 85428042
	s_cselect_b32 s68, s68, 0                                  // 000000004BDC: 85448044
	v_mfma_scale_f32_16x16x128_f8f6f4 a[28:31], v[100:103], v[20:23], a[28:31], v173, v168 op_sel_hi:[0,0,0] cbsz:4 blgp:4// 000000004BE0: D3AC7800 180351AD D3AD8C1C 84722964
	s_add_u32 s12, s12, s66                                    // 000000004BF0: 800C420C
	s_addc_u32 s13, 0, s13                                     // 000000004BF4: 820D0D80
	v_mfma_scale_f32_16x16x128_f8f6f4 a[64:67], v[88:91], v[24:27], a[64:67], v173, v169 op_sel_hi:[0,0,0] cbsz:4 blgp:4// 000000004BF8: D3AC6000 000353AD D3AD8C40 85023158
	s_sub_u32 s14, s14, s66                                    // 000000004C08: 808E420E
	buffer_load_dwordx4 v[136:139], v188, s[16:19], 0 offen    // 000000004C0C: E05C1000 800488BC
	v_mfma_scale_f32_16x16x128_f8f6f4 a[68:71], v[88:91], v[28:31], a[68:71], v173, v169 op_sel_hi:[0,0,0] cbsz:4 blgp:4// 000000004C14: D3AC7000 000353AD D3AD8C44 85123958
	s_add_u32 s20, s20, s68                                    // 000000004C24: 80144414
	s_addc_u32 s21, 0, s21                                     // 000000004C28: 82151580
	v_mfma_scale_f32_16x16x128_f8f6f4 a[72:75], v[92:95], v[24:27], a[72:75], v173, v169 op_sel_hi:[0,0,0] cbsz:4 blgp:4// 000000004C2C: D3AC6800 000353AD D3AD8C48 8522315C
	s_sub_u32 s22, s22, s68                                    // 000000004C3C: 80964416
	v_mfma_scale_f32_16x16x128_f8f6f4 a[76:79], v[92:95], v[28:31], a[76:79], v173, v169 op_sel_hi:[0,0,0] cbsz:4 blgp:4// 000000004C40: D3AC7800 000353AD D3AD8C4C 8532395C
	v_mfma_scale_f32_16x16x128_f8f6f4 a[64:67], v[96:99], v[32:35], a[64:67], v173, v169 op_sel_hi:[0,0,0] cbsz:4 blgp:4// 000000004C50: D3AC6000 180353AD D3AD8C40 85024160
	buffer_load_dwordx4 v[140:143], v189, s[16:19], 0 offen    // 000000004C60: E05C1000 80048CBD
	v_mfma_scale_f32_16x16x128_f8f6f4 a[68:71], v[96:99], v[36:39], a[68:71], v173, v169 op_sel_hi:[0,0,0] cbsz:4 blgp:4// 000000004C68: D3AC7000 180353AD D3AD8C44 85124960
	v_mfma_scale_f32_16x16x128_f8f6f4 a[72:75], v[100:103], v[32:35], a[72:75], v173, v169 op_sel_hi:[0,0,0] cbsz:4 blgp:4// 000000004C78: D3AC6800 180353AD D3AD8C48 85224164
	v_mfma_scale_f32_16x16x128_f8f6f4 a[76:79], v[100:103], v[36:39], a[76:79], v173, v169 op_sel_hi:[0,0,0] cbsz:4 blgp:4// 000000004C88: D3AC7800 180353AD D3AD8C4C 85324964
	v_mfma_scale_f32_16x16x128_f8f6f4 a[112:115], v[88:91], v[40:43], a[112:115], v173, v170 op_sel_hi:[0,0,0] cbsz:4 blgp:4// 000000004C98: D3AC6000 000355AD D3AD8C70 85C25158
	buffer_load_dwordx4 v[144:147], v188, s[16:19], 0 offen offset:1024// 000000004CA8: E05C1400 800490BC
	v_mfma_scale_f32_16x16x128_f8f6f4 a[116:119], v[88:91], v[44:47], a[116:119], v173, v170 op_sel_hi:[0,0,0] cbsz:4 blgp:4// 000000004CB0: D3AC7000 000355AD D3AD8C74 85D25958
	v_mfma_scale_f32_16x16x128_f8f6f4 a[120:123], v[92:95], v[40:43], a[120:123], v173, v170 op_sel_hi:[0,0,0] cbsz:4 blgp:4// 000000004CC0: D3AC6800 000355AD D3AD8C78 85E2515C
	v_mfma_scale_f32_16x16x128_f8f6f4 a[124:127], v[92:95], v[44:47], a[124:127], v173, v170 op_sel_hi:[0,0,0] cbsz:4 blgp:4// 000000004CD0: D3AC7800 000355AD D3AD8C7C 85F2595C
	v_mfma_scale_f32_16x16x128_f8f6f4 a[112:115], v[96:99], v[48:51], a[112:115], v173, v170 op_sel_hi:[0,0,0] cbsz:4 blgp:4// 000000004CE0: D3AC6000 180355AD D3AD8C70 85C26160
	buffer_load_dwordx4 v[148:151], v189, s[16:19], 0 offen offset:1024// 000000004CF0: E05C1400 800494BD
	v_mfma_scale_f32_16x16x128_f8f6f4 a[116:119], v[96:99], v[52:55], a[116:119], v173, v170 op_sel_hi:[0,0,0] cbsz:4 blgp:4// 000000004CF8: D3AC7000 180355AD D3AD8C74 85D26960
	v_mfma_scale_f32_16x16x128_f8f6f4 a[120:123], v[100:103], v[48:51], a[120:123], v173, v170 op_sel_hi:[0,0,0] cbsz:4 blgp:4// 000000004D08: D3AC6800 180355AD D3AD8C78 85E26164
	v_mfma_scale_f32_16x16x128_f8f6f4 a[124:127], v[100:103], v[52:55], a[124:127], v173, v170 op_sel_hi:[0,0,0] cbsz:4 blgp:4// 000000004D18: D3AC7800 180355AD D3AD8C7C 85F26964
	v_mfma_scale_f32_16x16x128_f8f6f4 a[160:163], v[88:91], v[56:59], a[160:163], v173, v171 op_sel_hi:[0,0,0] cbsz:4 blgp:4// 000000004D28: D3AC6000 000357AD D3AD8CA0 86827158
	buffer_load_dword v176, v193, s[24:27], 0 offen            // 000000004D38: E0501000 8006B0C1
	v_mfma_scale_f32_16x16x128_f8f6f4 a[164:167], v[88:91], v[60:63], a[164:167], v173, v171 op_sel_hi:[0,0,0] cbsz:4 blgp:4// 000000004D40: D3AC7000 000357AD D3AD8CA4 86927958
	v_mfma_scale_f32_16x16x128_f8f6f4 a[168:171], v[92:95], v[56:59], a[168:171], v173, v171 op_sel_hi:[0,0,0] cbsz:4 blgp:4// 000000004D50: D3AC6800 000357AD D3AD8CA8 86A2715C
	v_mfma_scale_f32_16x16x128_f8f6f4 a[172:175], v[92:95], v[60:63], a[172:175], v173, v171 op_sel_hi:[0,0,0] cbsz:4 blgp:4// 000000004D60: D3AC7800 000357AD D3AD8CAC 86B2795C
	v_mfma_scale_f32_16x16x128_f8f6f4 a[160:163], v[96:99], v[64:67], a[160:163], v173, v171 op_sel_hi:[0,0,0] cbsz:4 blgp:4// 000000004D70: D3AC6000 180357AD D3AD8CA0 86828160
	v_mfma_scale_f32_16x16x128_f8f6f4 a[164:167], v[96:99], v[68:71], a[164:167], v173, v171 op_sel_hi:[0,0,0] cbsz:4 blgp:4// 000000004D80: D3AC7000 180357AD D3AD8CA4 86928960
	v_mfma_scale_f32_16x16x128_f8f6f4 a[168:171], v[100:103], v[64:67], a[168:171], v173, v171 op_sel_hi:[0,0,0] cbsz:4 blgp:4// 000000004D90: D3AC6800 180357AD D3AD8CA8 86A28164
	v_mfma_scale_f32_16x16x128_f8f6f4 a[172:175], v[100:103], v[68:71], a[172:175], v173, v171 op_sel_hi:[0,0,0] cbsz:4 blgp:4// 000000004DA0: D3AC7800 180357AD D3AD8CAC 86B28964
	s_waitcnt vmcnt(15)                                        // 000000004DB0: BF8C0F7F
	v_mfma_scale_f32_16x16x128_f8f6f4 a[32:35], v[104:107], v[8:11], a[32:35], v174, v168 op_sel_hi:[0,0,0] cbsz:4 blgp:4// 000000004DB4: D3AC6000 000351AE D3AD8C20 84821168
	s_add_u32 s63, 0x200, s60                                  // 000000004DC4: 803F3CFF 00000200
	buffer_load_dwordx4 v[152:155], v190, s[16:19], 0 offen    // 000000004DCC: E05C1000 800498BE
	v_mfma_scale_f32_16x16x128_f8f6f4 a[36:39], v[104:107], v[12:15], a[36:39], v174, v168 op_sel_hi:[0,0,0] cbsz:4 blgp:4// 000000004DD4: D3AC7000 000351AE D3AD8C24 84921968
	s_cmp_lt_u32 s63, s61                                      // 000000004DE4: BF0A3D3F
	s_cselect_b32 s67, s67, 0                                  // 000000004DE8: 85438043
	v_mfma_scale_f32_16x16x128_f8f6f4 a[40:43], v[108:111], v[8:11], a[40:43], v174, v168 op_sel_hi:[0,0,0] cbsz:4 blgp:4// 000000004DEC: D3AC6800 000351AE D3AD8C28 84A2116C
	s_cselect_b32 s69, s69, 0                                  // 000000004DFC: 85458045
	v_mfma_scale_f32_16x16x128_f8f6f4 a[44:47], v[108:111], v[12:15], a[44:47], v174, v168 op_sel_hi:[0,0,0] cbsz:4 blgp:4// 000000004E00: D3AC7800 000351AE D3AD8C2C 84B2196C
	v_mfma_scale_f32_16x16x128_f8f6f4 a[32:35], v[112:115], v[16:19], a[32:35], v174, v168 op_sel_hi:[0,0,0] cbsz:4 blgp:4// 000000004E10: D3AC6000 180351AE D3AD8C20 84822170
	buffer_load_dwordx4 v[156:159], v191, s[16:19], 0 offen    // 000000004E20: E05C1000 80049CBF
	v_mfma_scale_f32_16x16x128_f8f6f4 a[36:39], v[112:115], v[20:23], a[36:39], v174, v168 op_sel_hi:[0,0,0] cbsz:4 blgp:4// 000000004E28: D3AC7000 180351AE D3AD8C24 84922970
	v_mfma_scale_f32_16x16x128_f8f6f4 a[40:43], v[116:119], v[16:19], a[40:43], v174, v168 op_sel_hi:[0,0,0] cbsz:4 blgp:4// 000000004E38: D3AC6800 180351AE D3AD8C28 84A22174
	v_mfma_scale_f32_16x16x128_f8f6f4 a[44:47], v[116:119], v[20:23], a[44:47], v174, v168 op_sel_hi:[0,0,0] cbsz:4 blgp:4// 000000004E48: D3AC7800 180351AE D3AD8C2C 84B22974
	v_mfma_scale_f32_16x16x128_f8f6f4 a[80:83], v[104:107], v[24:27], a[80:83], v174, v169 op_sel_hi:[0,0,0] cbsz:4 blgp:4// 000000004E58: D3AC6000 000353AE D3AD8C50 85423168
	buffer_load_dwordx4 v[160:163], v190, s[16:19], 0 offen offset:1024// 000000004E68: E05C1400 8004A0BE
	v_mfma_scale_f32_16x16x128_f8f6f4 a[84:87], v[104:107], v[28:31], a[84:87], v174, v169 op_sel_hi:[0,0,0] cbsz:4 blgp:4// 000000004E70: D3AC7000 000353AE D3AD8C54 85523968
	v_mfma_scale_f32_16x16x128_f8f6f4 a[88:91], v[108:111], v[24:27], a[88:91], v174, v169 op_sel_hi:[0,0,0] cbsz:4 blgp:4// 000000004E80: D3AC6800 000353AE D3AD8C58 8562316C
	v_mfma_scale_f32_16x16x128_f8f6f4 a[92:95], v[108:111], v[28:31], a[92:95], v174, v169 op_sel_hi:[0,0,0] cbsz:4 blgp:4// 000000004E90: D3AC7800 000353AE D3AD8C5C 8572396C
	v_mfma_scale_f32_16x16x128_f8f6f4 a[80:83], v[112:115], v[32:35], a[80:83], v174, v169 op_sel_hi:[0,0,0] cbsz:4 blgp:4// 000000004EA0: D3AC6000 180353AE D3AD8C50 85424170
	buffer_load_dwordx4 v[164:167], v191, s[16:19], 0 offen offset:1024// 000000004EB0: E05C1400 8004A4BF
	v_mfma_scale_f32_16x16x128_f8f6f4 a[84:87], v[112:115], v[36:39], a[84:87], v174, v169 op_sel_hi:[0,0,0] cbsz:4 blgp:4// 000000004EB8: D3AC7000 180353AE D3AD8C54 85524970
	v_mfma_scale_f32_16x16x128_f8f6f4 a[88:91], v[116:119], v[32:35], a[88:91], v174, v169 op_sel_hi:[0,0,0] cbsz:4 blgp:4// 000000004EC8: D3AC6800 180353AE D3AD8C58 85624174
	v_mfma_scale_f32_16x16x128_f8f6f4 a[92:95], v[116:119], v[36:39], a[92:95], v174, v169 op_sel_hi:[0,0,0] cbsz:4 blgp:4// 000000004ED8: D3AC7800 180353AE D3AD8C5C 85724974
	s_waitcnt vmcnt(16)                                        // 000000004EE8: BF8C4F70
	s_barrier                                                  // 000000004EEC: BF8A0000
	v_mfma_scale_f32_16x16x128_f8f6f4 a[128:131], v[104:107], v[40:43], a[128:131], v174, v170 op_sel_hi:[0,0,0] cbsz:4 blgp:4// 000000004EF0: D3AC6000 000355AE D3AD8C80 86025168
	buffer_load_dword v177, v194, s[24:27], 0 offen            // 000000004F00: E0501000 8006B1C2
	v_mfma_scale_f32_16x16x128_f8f6f4 a[132:135], v[104:107], v[44:47], a[132:135], v174, v170 op_sel_hi:[0,0,0] cbsz:4 blgp:4// 000000004F08: D3AC7000 000355AE D3AD8C84 86125968
	s_add_u32 s16, s16, s67                                    // 000000004F18: 80104310
	ds_read_b128 v[8:11], v183                                 // 000000004F1C: D9FE0000 080000B7
	v_mfma_scale_f32_16x16x128_f8f6f4 a[136:139], v[108:111], v[40:43], a[136:139], v174, v170 op_sel_hi:[0,0,0] cbsz:4 blgp:4// 000000004F24: D3AC6800 000355AE D3AD8C88 8622516C
	s_addc_u32 s17, 0, s17                                     // 000000004F34: 82111180
	s_sub_u32 s18, s18, s67                                    // 000000004F38: 80924312
	v_mfma_scale_f32_16x16x128_f8f6f4 a[140:143], v[108:111], v[44:47], a[140:143], v174, v170 op_sel_hi:[0,0,0] cbsz:4 blgp:4// 000000004F3C: D3AC7800 000355AE D3AD8C8C 8632596C
	s_add_u32 s24, s24, s69                                    // 000000004F4C: 80184518
	ds_read_b128 v[16:19], v183 offset:64                      // 000000004F50: D9FE0040 100000B7
	v_mfma_scale_f32_16x16x128_f8f6f4 a[128:131], v[112:115], v[48:51], a[128:131], v174, v170 op_sel_hi:[0,0,0] cbsz:4 blgp:4// 000000004F58: D3AC6000 180355AE D3AD8C80 86026170
	s_addc_u32 s25, 0, s25                                     // 000000004F68: 82191980
	s_sub_u32 s26, s26, s69                                    // 000000004F6C: 809A451A
	v_mfma_scale_f32_16x16x128_f8f6f4 a[132:135], v[112:115], v[52:55], a[132:135], v174, v170 op_sel_hi:[0,0,0] cbsz:4 blgp:4// 000000004F70: D3AC7000 180355AE D3AD8C84 86126970
	s_addk_i32 s60, 0x100                                      // 000000004F80: B73C0100
	ds_read_b128 v[12:15], v183 offset:512                     // 000000004F84: D9FE0200 0C0000B7
	v_mfma_scale_f32_16x16x128_f8f6f4 a[136:139], v[116:119], v[48:51], a[136:139], v174, v170 op_sel_hi:[0,0,0] cbsz:4 blgp:4// 000000004F8C: D3AC6800 180355AE D3AD8C88 86226174
	s_cmp_lt_i32 s60, s61                                      // 000000004F9C: BF043D3C
	v_mfma_scale_f32_16x16x128_f8f6f4 a[140:143], v[116:119], v[52:55], a[140:143], v174, v170 op_sel_hi:[0,0,0] cbsz:4 blgp:4// 000000004FA0: D3AC7800 180355AE D3AD8C8C 86326974
	ds_read_b128 v[20:23], v183 offset:576                     // 000000004FB0: D9FE0240 140000B7
	ds_read_b32 v168, v185 offset:1024                         // 000000004FB8: D86C0400 A80000B9
	v_mfma_scale_f32_16x16x128_f8f6f4 a[176:179], v[104:107], v[56:59], a[176:179], v174, v171 op_sel_hi:[0,0,0] cbsz:4 blgp:4// 000000004FC0: D3AC6000 000357AE D3AD8CB0 86C27168
	v_mfma_scale_f32_16x16x128_f8f6f4 a[180:183], v[104:107], v[60:63], a[180:183], v174, v171 op_sel_hi:[0,0,0] cbsz:4 blgp:4// 000000004FD0: D3AC7000 000357AE D3AD8CB4 86D27968
	ds_read_b128 v[24:27], v183 offset:4224                    // 000000004FE0: D9FE1080 180000B7
	v_mfma_scale_f32_16x16x128_f8f6f4 a[184:187], v[108:111], v[56:59], a[184:187], v174, v171 op_sel_hi:[0,0,0] cbsz:4 blgp:4// 000000004FE8: D3AC6800 000357AE D3AD8CB8 86E2716C
	v_mfma_scale_f32_16x16x128_f8f6f4 a[188:191], v[108:111], v[60:63], a[188:191], v174, v171 op_sel_hi:[0,0,0] cbsz:4 blgp:4// 000000004FF8: D3AC7800 000357AE D3AD8CBC 86F2796C
	ds_read_b128 v[32:35], v183 offset:4288                    // 000000005008: D9FE10C0 200000B7
	v_mfma_scale_f32_16x16x128_f8f6f4 a[176:179], v[112:115], v[64:67], a[176:179], v174, v171 op_sel_hi:[0,0,0] cbsz:4 blgp:4// 000000005010: D3AC6000 180357AE D3AD8CB0 86C28170
	v_mfma_scale_f32_16x16x128_f8f6f4 a[180:183], v[112:115], v[68:71], a[180:183], v174, v171 op_sel_hi:[0,0,0] cbsz:4 blgp:4// 000000005020: D3AC7000 180357AE D3AD8CB4 86D28970
	ds_read_b128 v[28:31], v183 offset:4736                    // 000000005030: D9FE1280 1C0000B7
	v_mfma_scale_f32_16x16x128_f8f6f4 a[184:187], v[116:119], v[64:67], a[184:187], v174, v171 op_sel_hi:[0,0,0] cbsz:4 blgp:4// 000000005038: D3AC6800 180357AE D3AD8CB8 86E28174
	v_mfma_scale_f32_16x16x128_f8f6f4 a[188:191], v[116:119], v[68:71], a[188:191], v174, v171 op_sel_hi:[0,0,0] cbsz:4 blgp:4// 000000005048: D3AC7800 180357AE D3AD8CBC 86F28974
	ds_read_b128 v[36:39], v183 offset:4800                    // 000000005058: D9FE12C0 240000B7
	ds_read_b32 v169, v185 offset:1280                         // 000000005060: D86C0500 A90000B9
	s_cbranch_scc0 label_0B16                                  // 000000005068: BF8401FB
	s_waitcnt vmcnt(10) lgkmcnt(5)                             // 00000000506C: BF8C057A
	s_barrier                                                  // 000000005070: BF8A0000
	v_mfma_scale_f32_16x16x128_f8f6f4 a[0:3], v[120:123], v[8:11], a[0:3], v175, v168 op_sel_hi:[0,0,0] cbsz:4 blgp:4// 000000005074: D3AC6000 000351AF D3AD8C00 84021178
	s_add_u32 m0, 0, s65                                       // 000000005084: 807C4180
	buffer_load_dword v184, s[20:23], 0 offen lds              // 000000005088: E0511000 800500B8
	v_mfma_scale_f32_16x16x128_f8f6f4 a[4:7], v[120:123], v[12:15], a[4:7], v175, v168 op_sel_hi:[0,0,0] cbsz:4 blgp:4// 000000005090: D3AC7000 000351AF D3AD8C04 84121978
	ds_read_b128 v[40:43], v183 offset:8448                    // 0000000050A0: D9FE2100 280000B7
	v_mfma_scale_f32_16x16x128_f8f6f4 a[8:11], v[124:127], v[8:11], a[8:11], v175, v168 op_sel_hi:[0,0,0] cbsz:4 blgp:4// 0000000050A8: D3AC6800 000351AF D3AD8C08 8422117C
	v_mfma_scale_f32_16x16x128_f8f6f4 a[12:15], v[124:127], v[12:15], a[12:15], v175, v168 op_sel_hi:[0,0,0] cbsz:4 blgp:4// 0000000050B8: D3AC7800 000351AF D3AD8C0C 8432197C
	ds_read_b128 v[48:51], v183 offset:8512                    // 0000000050C8: D9FE2140 300000B7
	v_mfma_scale_f32_16x16x128_f8f6f4 a[0:3], v[128:131], v[16:19], a[0:3], v175, v168 op_sel_hi:[0,0,0] cbsz:4 blgp:4// 0000000050D0: D3AC6000 180351AF D3AD8C00 84022180
	s_add_u32 m0, 0, s64                                       // 0000000050E0: 807C4080
	buffer_load_dwordx4 v178, s[12:15], 0 offen lds            // 0000000050E4: E05D1000 800300B2
	v_mfma_scale_f32_16x16x128_f8f6f4 a[4:7], v[128:131], v[20:23], a[4:7], v175, v168 op_sel_hi:[0,0,0] cbsz:4 blgp:4// 0000000050EC: D3AC7000 180351AF D3AD8C04 84122980
	ds_read_b128 v[44:47], v183 offset:8960                    // 0000000050FC: D9FE2300 2C0000B7
	v_mfma_scale_f32_16x16x128_f8f6f4 a[8:11], v[132:135], v[16:19], a[8:11], v175, v168 op_sel_hi:[0,0,0] cbsz:4 blgp:4// 000000005104: D3AC6800 180351AF D3AD8C08 84222184
	v_mfma_scale_f32_16x16x128_f8f6f4 a[12:15], v[132:135], v[20:23], a[12:15], v175, v168 op_sel_hi:[0,0,0] cbsz:4 blgp:4// 000000005114: D3AC7800 180351AF D3AD8C0C 84322984
	ds_read_b128 v[52:55], v183 offset:9024                    // 000000005124: D9FE2340 340000B7
	ds_read_b32 v170, v185 offset:1536                         // 00000000512C: D86C0600 AA0000B9
	s_waitcnt lgkmcnt(5)                                       // 000000005134: BF8CC57F
	v_mfma_scale_f32_16x16x128_f8f6f4 a[48:51], v[120:123], v[24:27], a[48:51], v175, v169 op_sel_hi:[0,0,0] cbsz:4 blgp:4// 000000005138: D3AC6000 000353AF D3AD8C30 84C23178
	s_add_u32 m0, 0x1080, s64                                  // 000000005148: 807C40FF 00001080
	buffer_load_dwordx4 v179, s[12:15], 0 offen lds            // 000000005150: E05D1000 800300B3
	v_mfma_scale_f32_16x16x128_f8f6f4 a[52:55], v[120:123], v[28:31], a[52:55], v175, v169 op_sel_hi:[0,0,0] cbsz:4 blgp:4// 000000005158: D3AC7000 000353AF D3AD8C34 84D23978
	ds_read_b128 v[56:59], v183 offset:12672                   // 000000005168: D9FE3180 380000B7
	v_mfma_scale_f32_16x16x128_f8f6f4 a[56:59], v[124:127], v[24:27], a[56:59], v175, v169 op_sel_hi:[0,0,0] cbsz:4 blgp:4// 000000005170: D3AC6800 000353AF D3AD8C38 84E2317C
	v_mfma_scale_f32_16x16x128_f8f6f4 a[60:63], v[124:127], v[28:31], a[60:63], v175, v169 op_sel_hi:[0,0,0] cbsz:4 blgp:4// 000000005180: D3AC7800 000353AF D3AD8C3C 84F2397C
	ds_read_b128 v[64:67], v183 offset:12736                   // 000000005190: D9FE31C0 400000B7
	v_mfma_scale_f32_16x16x128_f8f6f4 a[48:51], v[128:131], v[32:35], a[48:51], v175, v169 op_sel_hi:[0,0,0] cbsz:4 blgp:4// 000000005198: D3AC6000 180353AF D3AD8C30 84C24180
	buffer_load_dwordx4 v[72:75], v186, s[16:19], 0 offen      // 0000000051A8: E05C1000 800448BA
	v_mfma_scale_f32_16x16x128_f8f6f4 a[52:55], v[128:131], v[36:39], a[52:55], v175, v169 op_sel_hi:[0,0,0] cbsz:4 blgp:4// 0000000051B0: D3AC7000 180353AF D3AD8C34 84D24980
	ds_read_b128 v[60:63], v183 offset:13184                   // 0000000051C0: D9FE3380 3C0000B7
	v_mfma_scale_f32_16x16x128_f8f6f4 a[56:59], v[132:135], v[32:35], a[56:59], v175, v169 op_sel_hi:[0,0,0] cbsz:4 blgp:4// 0000000051C8: D3AC6800 180353AF D3AD8C38 84E24184
	v_mfma_scale_f32_16x16x128_f8f6f4 a[60:63], v[132:135], v[36:39], a[60:63], v175, v169 op_sel_hi:[0,0,0] cbsz:4 blgp:4// 0000000051D8: D3AC7800 180353AF D3AD8C3C 84F24984
	ds_read_b128 v[68:71], v183 offset:13248                   // 0000000051E8: D9FE33C0 440000B7
	ds_read_b32 v171, v185 offset:1792                         // 0000000051F0: D86C0700 AB0000B9
	s_waitcnt lgkmcnt(5)                                       // 0000000051F8: BF8CC57F
	v_mfma_scale_f32_16x16x128_f8f6f4 a[96:99], v[120:123], v[40:43], a[96:99], v175, v170 op_sel_hi:[0,0,0] cbsz:4 blgp:4// 0000000051FC: D3AC6000 000355AF D3AD8C60 85825178
	buffer_load_dwordx4 v[76:79], v187, s[16:19], 0 offen      // 00000000520C: E05C1000 80044CBB
	v_mfma_scale_f32_16x16x128_f8f6f4 a[100:103], v[120:123], v[44:47], a[100:103], v175, v170 op_sel_hi:[0,0,0] cbsz:4 blgp:4// 000000005214: D3AC7000 000355AF D3AD8C64 85925978
	v_mfma_scale_f32_16x16x128_f8f6f4 a[104:107], v[124:127], v[40:43], a[104:107], v175, v170 op_sel_hi:[0,0,0] cbsz:4 blgp:4// 000000005224: D3AC6800 000355AF D3AD8C68 85A2517C
	v_mfma_scale_f32_16x16x128_f8f6f4 a[108:111], v[124:127], v[44:47], a[108:111], v175, v170 op_sel_hi:[0,0,0] cbsz:4 blgp:4// 000000005234: D3AC7800 000355AF D3AD8C6C 85B2597C
	v_mfma_scale_f32_16x16x128_f8f6f4 a[96:99], v[128:131], v[48:51], a[96:99], v175, v170 op_sel_hi:[0,0,0] cbsz:4 blgp:4// 000000005244: D3AC6000 180355AF D3AD8C60 85826180
	buffer_load_dwordx4 v[80:83], v186, s[16:19], 0 offen offset:1024// 000000005254: E05C1400 800450BA
	v_mfma_scale_f32_16x16x128_f8f6f4 a[100:103], v[128:131], v[52:55], a[100:103], v175, v170 op_sel_hi:[0,0,0] cbsz:4 blgp:4// 00000000525C: D3AC7000 180355AF D3AD8C64 85926980
	v_mfma_scale_f32_16x16x128_f8f6f4 a[104:107], v[132:135], v[48:51], a[104:107], v175, v170 op_sel_hi:[0,0,0] cbsz:4 blgp:4// 00000000526C: D3AC6800 180355AF D3AD8C68 85A26184
	v_mfma_scale_f32_16x16x128_f8f6f4 a[108:111], v[132:135], v[52:55], a[108:111], v175, v170 op_sel_hi:[0,0,0] cbsz:4 blgp:4// 00000000527C: D3AC7800 180355AF D3AD8C6C 85B26984
	s_waitcnt lgkmcnt(0)                                       // 00000000528C: BF8CC07F
	v_mfma_scale_f32_16x16x128_f8f6f4 a[144:147], v[120:123], v[56:59], a[144:147], v175, v171 op_sel_hi:[0,0,0] cbsz:4 blgp:4// 000000005290: D3AC6000 000357AF D3AD8C90 86427178
	buffer_load_dwordx4 v[84:87], v187, s[16:19], 0 offen offset:1024// 0000000052A0: E05C1400 800454BB
	v_mfma_scale_f32_16x16x128_f8f6f4 a[148:151], v[120:123], v[60:63], a[148:151], v175, v171 op_sel_hi:[0,0,0] cbsz:4 blgp:4// 0000000052A8: D3AC7000 000357AF D3AD8C94 86527978
	v_mfma_scale_f32_16x16x128_f8f6f4 a[152:155], v[124:127], v[56:59], a[152:155], v175, v171 op_sel_hi:[0,0,0] cbsz:4 blgp:4// 0000000052B8: D3AC6800 000357AF D3AD8C98 8662717C
	v_mfma_scale_f32_16x16x128_f8f6f4 a[156:159], v[124:127], v[60:63], a[156:159], v175, v171 op_sel_hi:[0,0,0] cbsz:4 blgp:4// 0000000052C8: D3AC7800 000357AF D3AD8C9C 8672797C
	v_mfma_scale_f32_16x16x128_f8f6f4 a[144:147], v[128:131], v[64:67], a[144:147], v175, v171 op_sel_hi:[0,0,0] cbsz:4 blgp:4// 0000000052D8: D3AC6000 180357AF D3AD8C90 86428180
	buffer_load_dword v172, v192, s[24:27], 0 offen            // 0000000052E8: E0501000 8006ACC0
	v_mfma_scale_f32_16x16x128_f8f6f4 a[148:151], v[128:131], v[68:71], a[148:151], v175, v171 op_sel_hi:[0,0,0] cbsz:4 blgp:4// 0000000052F0: D3AC7000 180357AF D3AD8C94 86528980
	v_mfma_scale_f32_16x16x128_f8f6f4 a[152:155], v[132:135], v[64:67], a[152:155], v175, v171 op_sel_hi:[0,0,0] cbsz:4 blgp:4// 000000005300: D3AC6800 180357AF D3AD8C98 86628184
	v_mfma_scale_f32_16x16x128_f8f6f4 a[156:159], v[132:135], v[68:71], a[156:159], v175, v171 op_sel_hi:[0,0,0] cbsz:4 blgp:4// 000000005310: D3AC7800 180357AF D3AD8C9C 86728984
	s_waitcnt vmcnt(13)                                        // 000000005320: BF8C0F7D
	v_mfma_scale_f32_16x16x128_f8f6f4 a[16:19], v[136:139], v[8:11], a[16:19], v176, v168 op_sel_hi:[0,0,0] cbsz:4 blgp:4// 000000005324: D3AC6000 000351B0 D3AD8C10 84421188
	s_add_u32 m0, 0x2100, s64                                  // 000000005334: 807C40FF 00002100
	buffer_load_dwordx4 v180, s[12:15], 0 offen lds            // 00000000533C: E05D1000 800300B4
	v_mfma_scale_f32_16x16x128_f8f6f4 a[20:23], v[136:139], v[12:15], a[20:23], v176, v168 op_sel_hi:[0,0,0] cbsz:4 blgp:4// 000000005344: D3AC7000 000351B0 D3AD8C14 84521988
	v_mfma_scale_f32_16x16x128_f8f6f4 a[24:27], v[140:143], v[8:11], a[24:27], v176, v168 op_sel_hi:[0,0,0] cbsz:4 blgp:4// 000000005354: D3AC6800 000351B0 D3AD8C18 8462118C
	v_mfma_scale_f32_16x16x128_f8f6f4 a[28:31], v[140:143], v[12:15], a[28:31], v176, v168 op_sel_hi:[0,0,0] cbsz:4 blgp:4// 000000005364: D3AC7800 000351B0 D3AD8C1C 8472198C
	v_mfma_scale_f32_16x16x128_f8f6f4 a[16:19], v[144:147], v[16:19], a[16:19], v176, v168 op_sel_hi:[0,0,0] cbsz:4 blgp:4// 000000005374: D3AC6000 180351B0 D3AD8C10 84422190
	s_add_u32 m0, 0x3180, s64                                  // 000000005384: 807C40FF 00003180
	buffer_load_dwordx4 v181, s[12:15], 0 offen lds            // 00000000538C: E05D1000 800300B5
	v_mfma_scale_f32_16x16x128_f8f6f4 a[20:23], v[144:147], v[20:23], a[20:23], v176, v168 op_sel_hi:[0,0,0] cbsz:4 blgp:4// 000000005394: D3AC7000 180351B0 D3AD8C14 84522990
	s_add_u32 s62, 0x200, s60                                  // 0000000053A4: 803E3CFF 00000200
	s_cmp_lt_u32 s62, s61                                      // 0000000053AC: BF0A3D3E
	v_mfma_scale_f32_16x16x128_f8f6f4 a[24:27], v[148:151], v[16:19], a[24:27], v176, v168 op_sel_hi:[0,0,0] cbsz:4 blgp:4// 0000000053B0: D3AC6800 180351B0 D3AD8C18 84622194
	s_cselect_b32 s66, s66, 0                                  // 0000000053C0: 85428042
	s_cselect_b32 s68, s68, 0                                  // 0000000053C4: 85448044
	v_mfma_scale_f32_16x16x128_f8f6f4 a[28:31], v[148:151], v[20:23], a[28:31], v176, v168 op_sel_hi:[0,0,0] cbsz:4 blgp:4// 0000000053C8: D3AC7800 180351B0 D3AD8C1C 84722994
	s_add_u32 s12, s12, s66                                    // 0000000053D8: 800C420C
	s_addc_u32 s13, 0, s13                                     // 0000000053DC: 820D0D80
	v_mfma_scale_f32_16x16x128_f8f6f4 a[64:67], v[136:139], v[24:27], a[64:67], v176, v169 op_sel_hi:[0,0,0] cbsz:4 blgp:4// 0000000053E0: D3AC6000 000353B0 D3AD8C40 85023188
	s_sub_u32 s14, s14, s66                                    // 0000000053F0: 808E420E
	buffer_load_dwordx4 v[88:91], v188, s[16:19], 0 offen      // 0000000053F4: E05C1000 800458BC
	v_mfma_scale_f32_16x16x128_f8f6f4 a[68:71], v[136:139], v[28:31], a[68:71], v176, v169 op_sel_hi:[0,0,0] cbsz:4 blgp:4// 0000000053FC: D3AC7000 000353B0 D3AD8C44 85123988
	s_add_u32 s20, s20, s68                                    // 00000000540C: 80144414
	s_addc_u32 s21, 0, s21                                     // 000000005410: 82151580
	v_mfma_scale_f32_16x16x128_f8f6f4 a[72:75], v[140:143], v[24:27], a[72:75], v176, v169 op_sel_hi:[0,0,0] cbsz:4 blgp:4// 000000005414: D3AC6800 000353B0 D3AD8C48 8522318C
	s_sub_u32 s22, s22, s68                                    // 000000005424: 80964416
	v_mfma_scale_f32_16x16x128_f8f6f4 a[76:79], v[140:143], v[28:31], a[76:79], v176, v169 op_sel_hi:[0,0,0] cbsz:4 blgp:4// 000000005428: D3AC7800 000353B0 D3AD8C4C 8532398C
	v_mfma_scale_f32_16x16x128_f8f6f4 a[64:67], v[144:147], v[32:35], a[64:67], v176, v169 op_sel_hi:[0,0,0] cbsz:4 blgp:4// 000000005438: D3AC6000 180353B0 D3AD8C40 85024190
	buffer_load_dwordx4 v[92:95], v189, s[16:19], 0 offen      // 000000005448: E05C1000 80045CBD
	v_mfma_scale_f32_16x16x128_f8f6f4 a[68:71], v[144:147], v[36:39], a[68:71], v176, v169 op_sel_hi:[0,0,0] cbsz:4 blgp:4// 000000005450: D3AC7000 180353B0 D3AD8C44 85124990
	v_mfma_scale_f32_16x16x128_f8f6f4 a[72:75], v[148:151], v[32:35], a[72:75], v176, v169 op_sel_hi:[0,0,0] cbsz:4 blgp:4// 000000005460: D3AC6800 180353B0 D3AD8C48 85224194
	v_mfma_scale_f32_16x16x128_f8f6f4 a[76:79], v[148:151], v[36:39], a[76:79], v176, v169 op_sel_hi:[0,0,0] cbsz:4 blgp:4// 000000005470: D3AC7800 180353B0 D3AD8C4C 85324994
	v_mfma_scale_f32_16x16x128_f8f6f4 a[112:115], v[136:139], v[40:43], a[112:115], v176, v170 op_sel_hi:[0,0,0] cbsz:4 blgp:4// 000000005480: D3AC6000 000355B0 D3AD8C70 85C25188
	buffer_load_dwordx4 v[96:99], v188, s[16:19], 0 offen offset:1024// 000000005490: E05C1400 800460BC
	v_mfma_scale_f32_16x16x128_f8f6f4 a[116:119], v[136:139], v[44:47], a[116:119], v176, v170 op_sel_hi:[0,0,0] cbsz:4 blgp:4// 000000005498: D3AC7000 000355B0 D3AD8C74 85D25988
	v_mfma_scale_f32_16x16x128_f8f6f4 a[120:123], v[140:143], v[40:43], a[120:123], v176, v170 op_sel_hi:[0,0,0] cbsz:4 blgp:4// 0000000054A8: D3AC6800 000355B0 D3AD8C78 85E2518C
	v_mfma_scale_f32_16x16x128_f8f6f4 a[124:127], v[140:143], v[44:47], a[124:127], v176, v170 op_sel_hi:[0,0,0] cbsz:4 blgp:4// 0000000054B8: D3AC7800 000355B0 D3AD8C7C 85F2598C
	v_mfma_scale_f32_16x16x128_f8f6f4 a[112:115], v[144:147], v[48:51], a[112:115], v176, v170 op_sel_hi:[0,0,0] cbsz:4 blgp:4// 0000000054C8: D3AC6000 180355B0 D3AD8C70 85C26190
	buffer_load_dwordx4 v[100:103], v189, s[16:19], 0 offen offset:1024// 0000000054D8: E05C1400 800464BD
	v_mfma_scale_f32_16x16x128_f8f6f4 a[116:119], v[144:147], v[52:55], a[116:119], v176, v170 op_sel_hi:[0,0,0] cbsz:4 blgp:4// 0000000054E0: D3AC7000 180355B0 D3AD8C74 85D26990
	v_mfma_scale_f32_16x16x128_f8f6f4 a[120:123], v[148:151], v[48:51], a[120:123], v176, v170 op_sel_hi:[0,0,0] cbsz:4 blgp:4// 0000000054F0: D3AC6800 180355B0 D3AD8C78 85E26194
	v_mfma_scale_f32_16x16x128_f8f6f4 a[124:127], v[148:151], v[52:55], a[124:127], v176, v170 op_sel_hi:[0,0,0] cbsz:4 blgp:4// 000000005500: D3AC7800 180355B0 D3AD8C7C 85F26994
	v_mfma_scale_f32_16x16x128_f8f6f4 a[160:163], v[136:139], v[56:59], a[160:163], v176, v171 op_sel_hi:[0,0,0] cbsz:4 blgp:4// 000000005510: D3AC6000 000357B0 D3AD8CA0 86827188
	buffer_load_dword v173, v193, s[24:27], 0 offen            // 000000005520: E0501000 8006ADC1
	v_mfma_scale_f32_16x16x128_f8f6f4 a[164:167], v[136:139], v[60:63], a[164:167], v176, v171 op_sel_hi:[0,0,0] cbsz:4 blgp:4// 000000005528: D3AC7000 000357B0 D3AD8CA4 86927988
	v_mfma_scale_f32_16x16x128_f8f6f4 a[168:171], v[140:143], v[56:59], a[168:171], v176, v171 op_sel_hi:[0,0,0] cbsz:4 blgp:4// 000000005538: D3AC6800 000357B0 D3AD8CA8 86A2718C
	v_mfma_scale_f32_16x16x128_f8f6f4 a[172:175], v[140:143], v[60:63], a[172:175], v176, v171 op_sel_hi:[0,0,0] cbsz:4 blgp:4// 000000005548: D3AC7800 000357B0 D3AD8CAC 86B2798C
	v_mfma_scale_f32_16x16x128_f8f6f4 a[160:163], v[144:147], v[64:67], a[160:163], v176, v171 op_sel_hi:[0,0,0] cbsz:4 blgp:4// 000000005558: D3AC6000 180357B0 D3AD8CA0 86828190
	v_mfma_scale_f32_16x16x128_f8f6f4 a[164:167], v[144:147], v[68:71], a[164:167], v176, v171 op_sel_hi:[0,0,0] cbsz:4 blgp:4// 000000005568: D3AC7000 180357B0 D3AD8CA4 86928990
	v_mfma_scale_f32_16x16x128_f8f6f4 a[168:171], v[148:151], v[64:67], a[168:171], v176, v171 op_sel_hi:[0,0,0] cbsz:4 blgp:4// 000000005578: D3AC6800 180357B0 D3AD8CA8 86A28194
	v_mfma_scale_f32_16x16x128_f8f6f4 a[172:175], v[148:151], v[68:71], a[172:175], v176, v171 op_sel_hi:[0,0,0] cbsz:4 blgp:4// 000000005588: D3AC7800 180357B0 D3AD8CAC 86B28994
	s_waitcnt vmcnt(15)                                        // 000000005598: BF8C0F7F
	v_mfma_scale_f32_16x16x128_f8f6f4 a[32:35], v[152:155], v[8:11], a[32:35], v177, v168 op_sel_hi:[0,0,0] cbsz:4 blgp:4// 00000000559C: D3AC6000 000351B1 D3AD8C20 84821198
	s_add_u32 s63, 0x200, s60                                  // 0000000055AC: 803F3CFF 00000200
	buffer_load_dwordx4 v[104:107], v190, s[16:19], 0 offen    // 0000000055B4: E05C1000 800468BE
	v_mfma_scale_f32_16x16x128_f8f6f4 a[36:39], v[152:155], v[12:15], a[36:39], v177, v168 op_sel_hi:[0,0,0] cbsz:4 blgp:4// 0000000055BC: D3AC7000 000351B1 D3AD8C24 84921998
	s_cmp_lt_u32 s63, s61                                      // 0000000055CC: BF0A3D3F
	s_cselect_b32 s67, s67, 0                                  // 0000000055D0: 85438043
	v_mfma_scale_f32_16x16x128_f8f6f4 a[40:43], v[156:159], v[8:11], a[40:43], v177, v168 op_sel_hi:[0,0,0] cbsz:4 blgp:4// 0000000055D4: D3AC6800 000351B1 D3AD8C28 84A2119C
	s_cselect_b32 s69, s69, 0                                  // 0000000055E4: 85458045
	v_mfma_scale_f32_16x16x128_f8f6f4 a[44:47], v[156:159], v[12:15], a[44:47], v177, v168 op_sel_hi:[0,0,0] cbsz:4 blgp:4// 0000000055E8: D3AC7800 000351B1 D3AD8C2C 84B2199C
	v_mfma_scale_f32_16x16x128_f8f6f4 a[32:35], v[160:163], v[16:19], a[32:35], v177, v168 op_sel_hi:[0,0,0] cbsz:4 blgp:4// 0000000055F8: D3AC6000 180351B1 D3AD8C20 848221A0
	buffer_load_dwordx4 v[108:111], v191, s[16:19], 0 offen    // 000000005608: E05C1000 80046CBF
	v_mfma_scale_f32_16x16x128_f8f6f4 a[36:39], v[160:163], v[20:23], a[36:39], v177, v168 op_sel_hi:[0,0,0] cbsz:4 blgp:4// 000000005610: D3AC7000 180351B1 D3AD8C24 849229A0
	v_mfma_scale_f32_16x16x128_f8f6f4 a[40:43], v[164:167], v[16:19], a[40:43], v177, v168 op_sel_hi:[0,0,0] cbsz:4 blgp:4// 000000005620: D3AC6800 180351B1 D3AD8C28 84A221A4
	v_mfma_scale_f32_16x16x128_f8f6f4 a[44:47], v[164:167], v[20:23], a[44:47], v177, v168 op_sel_hi:[0,0,0] cbsz:4 blgp:4// 000000005630: D3AC7800 180351B1 D3AD8C2C 84B229A4
	v_mfma_scale_f32_16x16x128_f8f6f4 a[80:83], v[152:155], v[24:27], a[80:83], v177, v169 op_sel_hi:[0,0,0] cbsz:4 blgp:4// 000000005640: D3AC6000 000353B1 D3AD8C50 85423198
	buffer_load_dwordx4 v[112:115], v190, s[16:19], 0 offen offset:1024// 000000005650: E05C1400 800470BE
	v_mfma_scale_f32_16x16x128_f8f6f4 a[84:87], v[152:155], v[28:31], a[84:87], v177, v169 op_sel_hi:[0,0,0] cbsz:4 blgp:4// 000000005658: D3AC7000 000353B1 D3AD8C54 85523998
	v_mfma_scale_f32_16x16x128_f8f6f4 a[88:91], v[156:159], v[24:27], a[88:91], v177, v169 op_sel_hi:[0,0,0] cbsz:4 blgp:4// 000000005668: D3AC6800 000353B1 D3AD8C58 8562319C
	v_mfma_scale_f32_16x16x128_f8f6f4 a[92:95], v[156:159], v[28:31], a[92:95], v177, v169 op_sel_hi:[0,0,0] cbsz:4 blgp:4// 000000005678: D3AC7800 000353B1 D3AD8C5C 8572399C
	v_mfma_scale_f32_16x16x128_f8f6f4 a[80:83], v[160:163], v[32:35], a[80:83], v177, v169 op_sel_hi:[0,0,0] cbsz:4 blgp:4// 000000005688: D3AC6000 180353B1 D3AD8C50 854241A0
	buffer_load_dwordx4 v[116:119], v191, s[16:19], 0 offen offset:1024// 000000005698: E05C1400 800474BF
	v_mfma_scale_f32_16x16x128_f8f6f4 a[84:87], v[160:163], v[36:39], a[84:87], v177, v169 op_sel_hi:[0,0,0] cbsz:4 blgp:4// 0000000056A0: D3AC7000 180353B1 D3AD8C54 855249A0
	v_mfma_scale_f32_16x16x128_f8f6f4 a[88:91], v[164:167], v[32:35], a[88:91], v177, v169 op_sel_hi:[0,0,0] cbsz:4 blgp:4// 0000000056B0: D3AC6800 180353B1 D3AD8C58 856241A4
	v_mfma_scale_f32_16x16x128_f8f6f4 a[92:95], v[164:167], v[36:39], a[92:95], v177, v169 op_sel_hi:[0,0,0] cbsz:4 blgp:4// 0000000056C0: D3AC7800 180353B1 D3AD8C5C 857249A4
	s_waitcnt vmcnt(16)                                        // 0000000056D0: BF8C4F70
	s_barrier                                                  // 0000000056D4: BF8A0000
	v_mfma_scale_f32_16x16x128_f8f6f4 a[128:131], v[152:155], v[40:43], a[128:131], v177, v170 op_sel_hi:[0,0,0] cbsz:4 blgp:4// 0000000056D8: D3AC6000 000355B1 D3AD8C80 86025198
	buffer_load_dword v174, v194, s[24:27], 0 offen            // 0000000056E8: E0501000 8006AEC2
	v_mfma_scale_f32_16x16x128_f8f6f4 a[132:135], v[152:155], v[44:47], a[132:135], v177, v170 op_sel_hi:[0,0,0] cbsz:4 blgp:4// 0000000056F0: D3AC7000 000355B1 D3AD8C84 86125998
	s_add_u32 s16, s16, s67                                    // 000000005700: 80104310
	ds_read_b128 v[8:11], v182                                 // 000000005704: D9FE0000 080000B6
	v_mfma_scale_f32_16x16x128_f8f6f4 a[136:139], v[156:159], v[40:43], a[136:139], v177, v170 op_sel_hi:[0,0,0] cbsz:4 blgp:4// 00000000570C: D3AC6800 000355B1 D3AD8C88 8622519C
	s_addc_u32 s17, 0, s17                                     // 00000000571C: 82111180
	s_sub_u32 s18, s18, s67                                    // 000000005720: 80924312
	v_mfma_scale_f32_16x16x128_f8f6f4 a[140:143], v[156:159], v[44:47], a[140:143], v177, v170 op_sel_hi:[0,0,0] cbsz:4 blgp:4// 000000005724: D3AC7800 000355B1 D3AD8C8C 8632599C
	s_add_u32 s24, s24, s69                                    // 000000005734: 80184518
	ds_read_b128 v[16:19], v182 offset:64                      // 000000005738: D9FE0040 100000B6
	v_mfma_scale_f32_16x16x128_f8f6f4 a[128:131], v[160:163], v[48:51], a[128:131], v177, v170 op_sel_hi:[0,0,0] cbsz:4 blgp:4// 000000005740: D3AC6000 180355B1 D3AD8C80 860261A0
	s_addc_u32 s25, 0, s25                                     // 000000005750: 82191980
	s_sub_u32 s26, s26, s69                                    // 000000005754: 809A451A
	v_mfma_scale_f32_16x16x128_f8f6f4 a[132:135], v[160:163], v[52:55], a[132:135], v177, v170 op_sel_hi:[0,0,0] cbsz:4 blgp:4// 000000005758: D3AC7000 180355B1 D3AD8C84 861269A0
	s_addk_i32 s60, 0x100                                      // 000000005768: B73C0100
	ds_read_b128 v[12:15], v182 offset:512                     // 00000000576C: D9FE0200 0C0000B6
	v_mfma_scale_f32_16x16x128_f8f6f4 a[136:139], v[164:167], v[48:51], a[136:139], v177, v170 op_sel_hi:[0,0,0] cbsz:4 blgp:4// 000000005774: D3AC6800 180355B1 D3AD8C88 862261A4
	s_cmp_lt_i32 s60, s61                                      // 000000005784: BF043D3C
	v_mfma_scale_f32_16x16x128_f8f6f4 a[140:143], v[164:167], v[52:55], a[140:143], v177, v170 op_sel_hi:[0,0,0] cbsz:4 blgp:4// 000000005788: D3AC7800 180355B1 D3AD8C8C 863269A4
	ds_read_b128 v[20:23], v182 offset:576                     // 000000005798: D9FE0240 140000B6
	ds_read_b32 v168, v185                                     // 0000000057A0: D86C0000 A80000B9
	v_mfma_scale_f32_16x16x128_f8f6f4 a[176:179], v[152:155], v[56:59], a[176:179], v177, v171 op_sel_hi:[0,0,0] cbsz:4 blgp:4// 0000000057A8: D3AC6000 000357B1 D3AD8CB0 86C27198
	v_mfma_scale_f32_16x16x128_f8f6f4 a[180:183], v[152:155], v[60:63], a[180:183], v177, v171 op_sel_hi:[0,0,0] cbsz:4 blgp:4// 0000000057B8: D3AC7000 000357B1 D3AD8CB4 86D27998
	ds_read_b128 v[24:27], v182 offset:4224                    // 0000000057C8: D9FE1080 180000B6
	v_mfma_scale_f32_16x16x128_f8f6f4 a[184:187], v[156:159], v[56:59], a[184:187], v177, v171 op_sel_hi:[0,0,0] cbsz:4 blgp:4// 0000000057D0: D3AC6800 000357B1 D3AD8CB8 86E2719C
	v_mfma_scale_f32_16x16x128_f8f6f4 a[188:191], v[156:159], v[60:63], a[188:191], v177, v171 op_sel_hi:[0,0,0] cbsz:4 blgp:4// 0000000057E0: D3AC7800 000357B1 D3AD8CBC 86F2799C
	ds_read_b128 v[32:35], v182 offset:4288                    // 0000000057F0: D9FE10C0 200000B6
	v_mfma_scale_f32_16x16x128_f8f6f4 a[176:179], v[160:163], v[64:67], a[176:179], v177, v171 op_sel_hi:[0,0,0] cbsz:4 blgp:4// 0000000057F8: D3AC6000 180357B1 D3AD8CB0 86C281A0
	v_mfma_scale_f32_16x16x128_f8f6f4 a[180:183], v[160:163], v[68:71], a[180:183], v177, v171 op_sel_hi:[0,0,0] cbsz:4 blgp:4// 000000005808: D3AC7000 180357B1 D3AD8CB4 86D289A0
	ds_read_b128 v[28:31], v182 offset:4736                    // 000000005818: D9FE1280 1C0000B6
	v_mfma_scale_f32_16x16x128_f8f6f4 a[184:187], v[164:167], v[64:67], a[184:187], v177, v171 op_sel_hi:[0,0,0] cbsz:4 blgp:4// 000000005820: D3AC6800 180357B1 D3AD8CB8 86E281A4
	v_mfma_scale_f32_16x16x128_f8f6f4 a[188:191], v[164:167], v[68:71], a[188:191], v177, v171 op_sel_hi:[0,0,0] cbsz:4 blgp:4// 000000005830: D3AC7800 180357B1 D3AD8CBC 86F289A4
	ds_read_b128 v[36:39], v182 offset:4800                    // 000000005840: D9FE12C0 240000B6
	ds_read_b32 v169, v185 offset:256                          // 000000005848: D86C0100 A90000B9
	s_cbranch_scc0 label_0B16                                  // 000000005850: BF840001
	s_branch label_071F                                        // 000000005854: BF82FC09

0000000000005858 <label_0B16>:
	s_waitcnt lgkmcnt(0)                                       // 000000005858: BF8CC07F
	s_mul_i32 s62, s47, 0x180                                  // 00000000585C: 923EFF2F 00000180
	s_mul_i32 s63, s46, 0x60                                   // 000000005864: 923FFF2E 00000060
	s_add_u32 s60, s62, s63                                    // 00000000586C: 803C3F3E
	s_add_u32 s62, s60, 0x60                                   // 000000005870: 803EFF3C 00000060
	s_cmp_lt_i32 s44, s62                                      // 000000005878: BF043E2C
	s_cbranch_scc1 label_0E26                                  // 00000000587C: BF850306
	s_mul_i32 s62, s36, 16                                     // 000000005880: 923E9024
	v_add_u32_e32 v199, 0, v195                                // 000000005884: 698F8680
	v_accvgpr_read_b32 v8, a0                                  // 000000005888: D3D84008 18000100
	v_accvgpr_read_b32 v9, a1                                  // 000000005890: D3D84009 18000101
	v_accvgpr_read_b32 v10, a2                                 // 000000005898: D3D8400A 18000102
	v_accvgpr_read_b32 v11, a3                                 // 0000000058A0: D3D8400B 18000103
	v_accvgpr_read_b32 v12, a8                                 // 0000000058A8: D3D8400C 18000108
	v_accvgpr_read_b32 v13, a9                                 // 0000000058B0: D3D8400D 18000109
	v_accvgpr_read_b32 v14, a10                                // 0000000058B8: D3D8400E 1800010A
	v_accvgpr_read_b32 v15, a11                                // 0000000058C0: D3D8400F 1800010B
	v_cvt_pk_bf16_f32 v16, v8, v9                              // 0000000058C8: D2680010 00021308
	v_cvt_pk_bf16_f32 v17, v10, v11                            // 0000000058D0: D2680011 0002170A
	v_cvt_pk_bf16_f32 v18, v12, v13                            // 0000000058D8: D2680012 00021B0C
	v_cvt_pk_bf16_f32 v19, v14, v15                            // 0000000058E0: D2680013 00021F0E
	s_nop 1                                                    // 0000000058E8: BF800001
	v_permlane16_swap_b32_e32 v16, v18                         // 0000000058EC: 7E20B312
	s_nop 1                                                    // 0000000058F0: BF800001
	v_permlane16_swap_b32_e32 v17, v19                         // 0000000058F4: 7E22B313
	s_nop 1                                                    // 0000000058F8: BF800001
	buffer_store_dwordx4 v[16:19], v199, s[4:7], 0 offen       // 0000000058FC: E07C1000 800110C7
	v_add_u32_e32 v199, s62, v199                              // 000000005904: 698F8E3E
	v_accvgpr_read_b32 v8, a4                                  // 000000005908: D3D84008 18000104
	v_accvgpr_read_b32 v9, a5                                  // 000000005910: D3D84009 18000105
	v_accvgpr_read_b32 v10, a6                                 // 000000005918: D3D8400A 18000106
	v_accvgpr_read_b32 v11, a7                                 // 000000005920: D3D8400B 18000107
	v_accvgpr_read_b32 v12, a12                                // 000000005928: D3D8400C 1800010C
	v_accvgpr_read_b32 v13, a13                                // 000000005930: D3D8400D 1800010D
	v_accvgpr_read_b32 v14, a14                                // 000000005938: D3D8400E 1800010E
	v_accvgpr_read_b32 v15, a15                                // 000000005940: D3D8400F 1800010F
	v_cvt_pk_bf16_f32 v16, v8, v9                              // 000000005948: D2680010 00021308
	v_cvt_pk_bf16_f32 v17, v10, v11                            // 000000005950: D2680011 0002170A
	v_cvt_pk_bf16_f32 v18, v12, v13                            // 000000005958: D2680012 00021B0C
	v_cvt_pk_bf16_f32 v19, v14, v15                            // 000000005960: D2680013 00021F0E
	s_nop 1                                                    // 000000005968: BF800001
	v_permlane16_swap_b32_e32 v16, v18                         // 00000000596C: 7E20B312
	s_nop 1                                                    // 000000005970: BF800001
	v_permlane16_swap_b32_e32 v17, v19                         // 000000005974: 7E22B313
	s_nop 1                                                    // 000000005978: BF800001
	buffer_store_dwordx4 v[16:19], v199, s[4:7], 0 offen       // 00000000597C: E07C1000 800110C7
	v_add_u32_e32 v199, s62, v199                              // 000000005984: 698F8E3E
	v_accvgpr_read_b32 v8, a48                                 // 000000005988: D3D84008 18000130
	v_accvgpr_read_b32 v9, a49                                 // 000000005990: D3D84009 18000131
	v_accvgpr_read_b32 v10, a50                                // 000000005998: D3D8400A 18000132
	v_accvgpr_read_b32 v11, a51                                // 0000000059A0: D3D8400B 18000133
	v_accvgpr_read_b32 v12, a56                                // 0000000059A8: D3D8400C 18000138
	v_accvgpr_read_b32 v13, a57                                // 0000000059B0: D3D8400D 18000139
	v_accvgpr_read_b32 v14, a58                                // 0000000059B8: D3D8400E 1800013A
	v_accvgpr_read_b32 v15, a59                                // 0000000059C0: D3D8400F 1800013B
	v_cvt_pk_bf16_f32 v16, v8, v9                              // 0000000059C8: D2680010 00021308
	v_cvt_pk_bf16_f32 v17, v10, v11                            // 0000000059D0: D2680011 0002170A
	v_cvt_pk_bf16_f32 v18, v12, v13                            // 0000000059D8: D2680012 00021B0C
	v_cvt_pk_bf16_f32 v19, v14, v15                            // 0000000059E0: D2680013 00021F0E
	s_nop 1                                                    // 0000000059E8: BF800001
	v_permlane16_swap_b32_e32 v16, v18                         // 0000000059EC: 7E20B312
	s_nop 1                                                    // 0000000059F0: BF800001
	v_permlane16_swap_b32_e32 v17, v19                         // 0000000059F4: 7E22B313
	s_nop 1                                                    // 0000000059F8: BF800001
	buffer_store_dwordx4 v[16:19], v199, s[4:7], 0 offen       // 0000000059FC: E07C1000 800110C7
	v_add_u32_e32 v199, s62, v199                              // 000000005A04: 698F8E3E
	v_accvgpr_read_b32 v8, a52                                 // 000000005A08: D3D84008 18000134
	v_accvgpr_read_b32 v9, a53                                 // 000000005A10: D3D84009 18000135
	v_accvgpr_read_b32 v10, a54                                // 000000005A18: D3D8400A 18000136
	v_accvgpr_read_b32 v11, a55                                // 000000005A20: D3D8400B 18000137
	v_accvgpr_read_b32 v12, a60                                // 000000005A28: D3D8400C 1800013C
	v_accvgpr_read_b32 v13, a61                                // 000000005A30: D3D8400D 1800013D
	v_accvgpr_read_b32 v14, a62                                // 000000005A38: D3D8400E 1800013E
	v_accvgpr_read_b32 v15, a63                                // 000000005A40: D3D8400F 1800013F
	v_cvt_pk_bf16_f32 v16, v8, v9                              // 000000005A48: D2680010 00021308
	v_cvt_pk_bf16_f32 v17, v10, v11                            // 000000005A50: D2680011 0002170A
	v_cvt_pk_bf16_f32 v18, v12, v13                            // 000000005A58: D2680012 00021B0C
	v_cvt_pk_bf16_f32 v19, v14, v15                            // 000000005A60: D2680013 00021F0E
	s_nop 1                                                    // 000000005A68: BF800001
	v_permlane16_swap_b32_e32 v16, v18                         // 000000005A6C: 7E20B312
	s_nop 1                                                    // 000000005A70: BF800001
	v_permlane16_swap_b32_e32 v17, v19                         // 000000005A74: 7E22B313
	s_nop 1                                                    // 000000005A78: BF800001
	buffer_store_dwordx4 v[16:19], v199, s[4:7], 0 offen       // 000000005A7C: E07C1000 800110C7
	v_add_u32_e32 v199, s62, v199                              // 000000005A84: 698F8E3E
	v_accvgpr_read_b32 v8, a96                                 // 000000005A88: D3D84008 18000160
	v_accvgpr_read_b32 v9, a97                                 // 000000005A90: D3D84009 18000161
	v_accvgpr_read_b32 v10, a98                                // 000000005A98: D3D8400A 18000162
	v_accvgpr_read_b32 v11, a99                                // 000000005AA0: D3D8400B 18000163
	v_accvgpr_read_b32 v12, a104                               // 000000005AA8: D3D8400C 18000168
	v_accvgpr_read_b32 v13, a105                               // 000000005AB0: D3D8400D 18000169
	v_accvgpr_read_b32 v14, a106                               // 000000005AB8: D3D8400E 1800016A
	v_accvgpr_read_b32 v15, a107                               // 000000005AC0: D3D8400F 1800016B
	v_cvt_pk_bf16_f32 v16, v8, v9                              // 000000005AC8: D2680010 00021308
	v_cvt_pk_bf16_f32 v17, v10, v11                            // 000000005AD0: D2680011 0002170A
	v_cvt_pk_bf16_f32 v18, v12, v13                            // 000000005AD8: D2680012 00021B0C
	v_cvt_pk_bf16_f32 v19, v14, v15                            // 000000005AE0: D2680013 00021F0E
	s_nop 1                                                    // 000000005AE8: BF800001
	v_permlane16_swap_b32_e32 v16, v18                         // 000000005AEC: 7E20B312
	s_nop 1                                                    // 000000005AF0: BF800001
	v_permlane16_swap_b32_e32 v17, v19                         // 000000005AF4: 7E22B313
	s_nop 1                                                    // 000000005AF8: BF800001
	buffer_store_dwordx4 v[16:19], v199, s[4:7], 0 offen       // 000000005AFC: E07C1000 800110C7
	v_add_u32_e32 v199, s62, v199                              // 000000005B04: 698F8E3E
	v_accvgpr_read_b32 v8, a100                                // 000000005B08: D3D84008 18000164
	v_accvgpr_read_b32 v9, a101                                // 000000005B10: D3D84009 18000165
	v_accvgpr_read_b32 v10, a102                               // 000000005B18: D3D8400A 18000166
	v_accvgpr_read_b32 v11, a103                               // 000000005B20: D3D8400B 18000167
	v_accvgpr_read_b32 v12, a108                               // 000000005B28: D3D8400C 1800016C
	v_accvgpr_read_b32 v13, a109                               // 000000005B30: D3D8400D 1800016D
	v_accvgpr_read_b32 v14, a110                               // 000000005B38: D3D8400E 1800016E
	v_accvgpr_read_b32 v15, a111                               // 000000005B40: D3D8400F 1800016F
	v_cvt_pk_bf16_f32 v16, v8, v9                              // 000000005B48: D2680010 00021308
	v_cvt_pk_bf16_f32 v17, v10, v11                            // 000000005B50: D2680011 0002170A
	v_cvt_pk_bf16_f32 v18, v12, v13                            // 000000005B58: D2680012 00021B0C
	v_cvt_pk_bf16_f32 v19, v14, v15                            // 000000005B60: D2680013 00021F0E
	s_nop 1                                                    // 000000005B68: BF800001
	v_permlane16_swap_b32_e32 v16, v18                         // 000000005B6C: 7E20B312
	s_nop 1                                                    // 000000005B70: BF800001
	v_permlane16_swap_b32_e32 v17, v19                         // 000000005B74: 7E22B313
	s_nop 1                                                    // 000000005B78: BF800001
	buffer_store_dwordx4 v[16:19], v199, s[4:7], 0 offen       // 000000005B7C: E07C1000 800110C7
	v_add_u32_e32 v199, s62, v199                              // 000000005B84: 698F8E3E
	v_accvgpr_read_b32 v8, a144                                // 000000005B88: D3D84008 18000190
	v_accvgpr_read_b32 v9, a145                                // 000000005B90: D3D84009 18000191
	v_accvgpr_read_b32 v10, a146                               // 000000005B98: D3D8400A 18000192
	v_accvgpr_read_b32 v11, a147                               // 000000005BA0: D3D8400B 18000193
	v_accvgpr_read_b32 v12, a152                               // 000000005BA8: D3D8400C 18000198
	v_accvgpr_read_b32 v13, a153                               // 000000005BB0: D3D8400D 18000199
	v_accvgpr_read_b32 v14, a154                               // 000000005BB8: D3D8400E 1800019A
	v_accvgpr_read_b32 v15, a155                               // 000000005BC0: D3D8400F 1800019B
	v_cvt_pk_bf16_f32 v16, v8, v9                              // 000000005BC8: D2680010 00021308
	v_cvt_pk_bf16_f32 v17, v10, v11                            // 000000005BD0: D2680011 0002170A
	v_cvt_pk_bf16_f32 v18, v12, v13                            // 000000005BD8: D2680012 00021B0C
	v_cvt_pk_bf16_f32 v19, v14, v15                            // 000000005BE0: D2680013 00021F0E
	s_nop 1                                                    // 000000005BE8: BF800001
	v_permlane16_swap_b32_e32 v16, v18                         // 000000005BEC: 7E20B312
	s_nop 1                                                    // 000000005BF0: BF800001
	v_permlane16_swap_b32_e32 v17, v19                         // 000000005BF4: 7E22B313
	s_nop 1                                                    // 000000005BF8: BF800001
	buffer_store_dwordx4 v[16:19], v199, s[4:7], 0 offen       // 000000005BFC: E07C1000 800110C7
	v_add_u32_e32 v199, s62, v199                              // 000000005C04: 698F8E3E
	v_accvgpr_read_b32 v8, a148                                // 000000005C08: D3D84008 18000194
	v_accvgpr_read_b32 v9, a149                                // 000000005C10: D3D84009 18000195
	v_accvgpr_read_b32 v10, a150                               // 000000005C18: D3D8400A 18000196
	v_accvgpr_read_b32 v11, a151                               // 000000005C20: D3D8400B 18000197
	v_accvgpr_read_b32 v12, a156                               // 000000005C28: D3D8400C 1800019C
	v_accvgpr_read_b32 v13, a157                               // 000000005C30: D3D8400D 1800019D
	v_accvgpr_read_b32 v14, a158                               // 000000005C38: D3D8400E 1800019E
	v_accvgpr_read_b32 v15, a159                               // 000000005C40: D3D8400F 1800019F
	v_cvt_pk_bf16_f32 v16, v8, v9                              // 000000005C48: D2680010 00021308
	v_cvt_pk_bf16_f32 v17, v10, v11                            // 000000005C50: D2680011 0002170A
	v_cvt_pk_bf16_f32 v18, v12, v13                            // 000000005C58: D2680012 00021B0C
	v_cvt_pk_bf16_f32 v19, v14, v15                            // 000000005C60: D2680013 00021F0E
	s_nop 1                                                    // 000000005C68: BF800001
	v_permlane16_swap_b32_e32 v16, v18                         // 000000005C6C: 7E20B312
	s_nop 1                                                    // 000000005C70: BF800001
	v_permlane16_swap_b32_e32 v17, v19                         // 000000005C74: 7E22B313
	s_nop 1                                                    // 000000005C78: BF800001
	buffer_store_dwordx4 v[16:19], v199, s[4:7], 0 offen       // 000000005C7C: E07C1000 800110C7
	v_add_u32_e32 v199, s62, v199                              // 000000005C84: 698F8E3E
	v_add_u32_e32 v199, 64, v195                               // 000000005C88: 698F86C0
	v_accvgpr_read_b32 v8, a16                                 // 000000005C8C: D3D84008 18000110
	v_accvgpr_read_b32 v9, a17                                 // 000000005C94: D3D84009 18000111
	v_accvgpr_read_b32 v10, a18                                // 000000005C9C: D3D8400A 18000112
	v_accvgpr_read_b32 v11, a19                                // 000000005CA4: D3D8400B 18000113
	v_accvgpr_read_b32 v12, a24                                // 000000005CAC: D3D8400C 18000118
	v_accvgpr_read_b32 v13, a25                                // 000000005CB4: D3D8400D 18000119
	v_accvgpr_read_b32 v14, a26                                // 000000005CBC: D3D8400E 1800011A
	v_accvgpr_read_b32 v15, a27                                // 000000005CC4: D3D8400F 1800011B
	v_cvt_pk_bf16_f32 v16, v8, v9                              // 000000005CCC: D2680010 00021308
	v_cvt_pk_bf16_f32 v17, v10, v11                            // 000000005CD4: D2680011 0002170A
	v_cvt_pk_bf16_f32 v18, v12, v13                            // 000000005CDC: D2680012 00021B0C
	v_cvt_pk_bf16_f32 v19, v14, v15                            // 000000005CE4: D2680013 00021F0E
	s_nop 1                                                    // 000000005CEC: BF800001
	v_permlane16_swap_b32_e32 v16, v18                         // 000000005CF0: 7E20B312
	s_nop 1                                                    // 000000005CF4: BF800001
	v_permlane16_swap_b32_e32 v17, v19                         // 000000005CF8: 7E22B313
	s_nop 1                                                    // 000000005CFC: BF800001
	buffer_store_dwordx4 v[16:19], v199, s[4:7], 0 offen       // 000000005D00: E07C1000 800110C7
	v_add_u32_e32 v199, s62, v199                              // 000000005D08: 698F8E3E
	v_accvgpr_read_b32 v8, a20                                 // 000000005D0C: D3D84008 18000114
	v_accvgpr_read_b32 v9, a21                                 // 000000005D14: D3D84009 18000115
	v_accvgpr_read_b32 v10, a22                                // 000000005D1C: D3D8400A 18000116
	v_accvgpr_read_b32 v11, a23                                // 000000005D24: D3D8400B 18000117
	v_accvgpr_read_b32 v12, a28                                // 000000005D2C: D3D8400C 1800011C
	v_accvgpr_read_b32 v13, a29                                // 000000005D34: D3D8400D 1800011D
	v_accvgpr_read_b32 v14, a30                                // 000000005D3C: D3D8400E 1800011E
	v_accvgpr_read_b32 v15, a31                                // 000000005D44: D3D8400F 1800011F
	v_cvt_pk_bf16_f32 v16, v8, v9                              // 000000005D4C: D2680010 00021308
	v_cvt_pk_bf16_f32 v17, v10, v11                            // 000000005D54: D2680011 0002170A
	v_cvt_pk_bf16_f32 v18, v12, v13                            // 000000005D5C: D2680012 00021B0C
	v_cvt_pk_bf16_f32 v19, v14, v15                            // 000000005D64: D2680013 00021F0E
	s_nop 1                                                    // 000000005D6C: BF800001
	v_permlane16_swap_b32_e32 v16, v18                         // 000000005D70: 7E20B312
	s_nop 1                                                    // 000000005D74: BF800001
	v_permlane16_swap_b32_e32 v17, v19                         // 000000005D78: 7E22B313
	s_nop 1                                                    // 000000005D7C: BF800001
	buffer_store_dwordx4 v[16:19], v199, s[4:7], 0 offen       // 000000005D80: E07C1000 800110C7
	v_add_u32_e32 v199, s62, v199                              // 000000005D88: 698F8E3E
	v_accvgpr_read_b32 v8, a64                                 // 000000005D8C: D3D84008 18000140
	v_accvgpr_read_b32 v9, a65                                 // 000000005D94: D3D84009 18000141
	v_accvgpr_read_b32 v10, a66                                // 000000005D9C: D3D8400A 18000142
	v_accvgpr_read_b32 v11, a67                                // 000000005DA4: D3D8400B 18000143
	v_accvgpr_read_b32 v12, a72                                // 000000005DAC: D3D8400C 18000148
	v_accvgpr_read_b32 v13, a73                                // 000000005DB4: D3D8400D 18000149
	v_accvgpr_read_b32 v14, a74                                // 000000005DBC: D3D8400E 1800014A
	v_accvgpr_read_b32 v15, a75                                // 000000005DC4: D3D8400F 1800014B
	v_cvt_pk_bf16_f32 v16, v8, v9                              // 000000005DCC: D2680010 00021308
	v_cvt_pk_bf16_f32 v17, v10, v11                            // 000000005DD4: D2680011 0002170A
	v_cvt_pk_bf16_f32 v18, v12, v13                            // 000000005DDC: D2680012 00021B0C
	v_cvt_pk_bf16_f32 v19, v14, v15                            // 000000005DE4: D2680013 00021F0E
	s_nop 1                                                    // 000000005DEC: BF800001
	v_permlane16_swap_b32_e32 v16, v18                         // 000000005DF0: 7E20B312
	s_nop 1                                                    // 000000005DF4: BF800001
	v_permlane16_swap_b32_e32 v17, v19                         // 000000005DF8: 7E22B313
	s_nop 1                                                    // 000000005DFC: BF800001
	buffer_store_dwordx4 v[16:19], v199, s[4:7], 0 offen       // 000000005E00: E07C1000 800110C7
	v_add_u32_e32 v199, s62, v199                              // 000000005E08: 698F8E3E
	v_accvgpr_read_b32 v8, a68                                 // 000000005E0C: D3D84008 18000144
	v_accvgpr_read_b32 v9, a69                                 // 000000005E14: D3D84009 18000145
	v_accvgpr_read_b32 v10, a70                                // 000000005E1C: D3D8400A 18000146
	v_accvgpr_read_b32 v11, a71                                // 000000005E24: D3D8400B 18000147
	v_accvgpr_read_b32 v12, a76                                // 000000005E2C: D3D8400C 1800014C
	v_accvgpr_read_b32 v13, a77                                // 000000005E34: D3D8400D 1800014D
	v_accvgpr_read_b32 v14, a78                                // 000000005E3C: D3D8400E 1800014E
	v_accvgpr_read_b32 v15, a79                                // 000000005E44: D3D8400F 1800014F
	v_cvt_pk_bf16_f32 v16, v8, v9                              // 000000005E4C: D2680010 00021308
	v_cvt_pk_bf16_f32 v17, v10, v11                            // 000000005E54: D2680011 0002170A
	v_cvt_pk_bf16_f32 v18, v12, v13                            // 000000005E5C: D2680012 00021B0C
	v_cvt_pk_bf16_f32 v19, v14, v15                            // 000000005E64: D2680013 00021F0E
	s_nop 1                                                    // 000000005E6C: BF800001
	v_permlane16_swap_b32_e32 v16, v18                         // 000000005E70: 7E20B312
	s_nop 1                                                    // 000000005E74: BF800001
	v_permlane16_swap_b32_e32 v17, v19                         // 000000005E78: 7E22B313
	s_nop 1                                                    // 000000005E7C: BF800001
	buffer_store_dwordx4 v[16:19], v199, s[4:7], 0 offen       // 000000005E80: E07C1000 800110C7
	v_add_u32_e32 v199, s62, v199                              // 000000005E88: 698F8E3E
	v_accvgpr_read_b32 v8, a112                                // 000000005E8C: D3D84008 18000170
	v_accvgpr_read_b32 v9, a113                                // 000000005E94: D3D84009 18000171
	v_accvgpr_read_b32 v10, a114                               // 000000005E9C: D3D8400A 18000172
	v_accvgpr_read_b32 v11, a115                               // 000000005EA4: D3D8400B 18000173
	v_accvgpr_read_b32 v12, a120                               // 000000005EAC: D3D8400C 18000178
	v_accvgpr_read_b32 v13, a121                               // 000000005EB4: D3D8400D 18000179
	v_accvgpr_read_b32 v14, a122                               // 000000005EBC: D3D8400E 1800017A
	v_accvgpr_read_b32 v15, a123                               // 000000005EC4: D3D8400F 1800017B
	v_cvt_pk_bf16_f32 v16, v8, v9                              // 000000005ECC: D2680010 00021308
	v_cvt_pk_bf16_f32 v17, v10, v11                            // 000000005ED4: D2680011 0002170A
	v_cvt_pk_bf16_f32 v18, v12, v13                            // 000000005EDC: D2680012 00021B0C
	v_cvt_pk_bf16_f32 v19, v14, v15                            // 000000005EE4: D2680013 00021F0E
	s_nop 1                                                    // 000000005EEC: BF800001
	v_permlane16_swap_b32_e32 v16, v18                         // 000000005EF0: 7E20B312
	s_nop 1                                                    // 000000005EF4: BF800001
	v_permlane16_swap_b32_e32 v17, v19                         // 000000005EF8: 7E22B313
	s_nop 1                                                    // 000000005EFC: BF800001
	buffer_store_dwordx4 v[16:19], v199, s[4:7], 0 offen       // 000000005F00: E07C1000 800110C7
	v_add_u32_e32 v199, s62, v199                              // 000000005F08: 698F8E3E
	v_accvgpr_read_b32 v8, a116                                // 000000005F0C: D3D84008 18000174
	v_accvgpr_read_b32 v9, a117                                // 000000005F14: D3D84009 18000175
	v_accvgpr_read_b32 v10, a118                               // 000000005F1C: D3D8400A 18000176
	v_accvgpr_read_b32 v11, a119                               // 000000005F24: D3D8400B 18000177
	v_accvgpr_read_b32 v12, a124                               // 000000005F2C: D3D8400C 1800017C
	v_accvgpr_read_b32 v13, a125                               // 000000005F34: D3D8400D 1800017D
	v_accvgpr_read_b32 v14, a126                               // 000000005F3C: D3D8400E 1800017E
	v_accvgpr_read_b32 v15, a127                               // 000000005F44: D3D8400F 1800017F
	v_cvt_pk_bf16_f32 v16, v8, v9                              // 000000005F4C: D2680010 00021308
	v_cvt_pk_bf16_f32 v17, v10, v11                            // 000000005F54: D2680011 0002170A
	v_cvt_pk_bf16_f32 v18, v12, v13                            // 000000005F5C: D2680012 00021B0C
	v_cvt_pk_bf16_f32 v19, v14, v15                            // 000000005F64: D2680013 00021F0E
	s_nop 1                                                    // 000000005F6C: BF800001
	v_permlane16_swap_b32_e32 v16, v18                         // 000000005F70: 7E20B312
	s_nop 1                                                    // 000000005F74: BF800001
	v_permlane16_swap_b32_e32 v17, v19                         // 000000005F78: 7E22B313
	s_nop 1                                                    // 000000005F7C: BF800001
	buffer_store_dwordx4 v[16:19], v199, s[4:7], 0 offen       // 000000005F80: E07C1000 800110C7
	v_add_u32_e32 v199, s62, v199                              // 000000005F88: 698F8E3E
	v_accvgpr_read_b32 v8, a160                                // 000000005F8C: D3D84008 180001A0
	v_accvgpr_read_b32 v9, a161                                // 000000005F94: D3D84009 180001A1
	v_accvgpr_read_b32 v10, a162                               // 000000005F9C: D3D8400A 180001A2
	v_accvgpr_read_b32 v11, a163                               // 000000005FA4: D3D8400B 180001A3
	v_accvgpr_read_b32 v12, a168                               // 000000005FAC: D3D8400C 180001A8
	v_accvgpr_read_b32 v13, a169                               // 000000005FB4: D3D8400D 180001A9
	v_accvgpr_read_b32 v14, a170                               // 000000005FBC: D3D8400E 180001AA
	v_accvgpr_read_b32 v15, a171                               // 000000005FC4: D3D8400F 180001AB
	v_cvt_pk_bf16_f32 v16, v8, v9                              // 000000005FCC: D2680010 00021308
	v_cvt_pk_bf16_f32 v17, v10, v11                            // 000000005FD4: D2680011 0002170A
	v_cvt_pk_bf16_f32 v18, v12, v13                            // 000000005FDC: D2680012 00021B0C
	v_cvt_pk_bf16_f32 v19, v14, v15                            // 000000005FE4: D2680013 00021F0E
	s_nop 1                                                    // 000000005FEC: BF800001
	v_permlane16_swap_b32_e32 v16, v18                         // 000000005FF0: 7E20B312
	s_nop 1                                                    // 000000005FF4: BF800001
	v_permlane16_swap_b32_e32 v17, v19                         // 000000005FF8: 7E22B313
	s_nop 1                                                    // 000000005FFC: BF800001
	buffer_store_dwordx4 v[16:19], v199, s[4:7], 0 offen       // 000000006000: E07C1000 800110C7
	v_add_u32_e32 v199, s62, v199                              // 000000006008: 698F8E3E
	v_accvgpr_read_b32 v8, a164                                // 00000000600C: D3D84008 180001A4
	v_accvgpr_read_b32 v9, a165                                // 000000006014: D3D84009 180001A5
	v_accvgpr_read_b32 v10, a166                               // 00000000601C: D3D8400A 180001A6
	v_accvgpr_read_b32 v11, a167                               // 000000006024: D3D8400B 180001A7
	v_accvgpr_read_b32 v12, a172                               // 00000000602C: D3D8400C 180001AC
	v_accvgpr_read_b32 v13, a173                               // 000000006034: D3D8400D 180001AD
	v_accvgpr_read_b32 v14, a174                               // 00000000603C: D3D8400E 180001AE
	v_accvgpr_read_b32 v15, a175                               // 000000006044: D3D8400F 180001AF
	v_cvt_pk_bf16_f32 v16, v8, v9                              // 00000000604C: D2680010 00021308
	v_cvt_pk_bf16_f32 v17, v10, v11                            // 000000006054: D2680011 0002170A
	v_cvt_pk_bf16_f32 v18, v12, v13                            // 00000000605C: D2680012 00021B0C
	v_cvt_pk_bf16_f32 v19, v14, v15                            // 000000006064: D2680013 00021F0E
	s_nop 1                                                    // 00000000606C: BF800001
	v_permlane16_swap_b32_e32 v16, v18                         // 000000006070: 7E20B312
	s_nop 1                                                    // 000000006074: BF800001
	v_permlane16_swap_b32_e32 v17, v19                         // 000000006078: 7E22B313
	s_nop 1                                                    // 00000000607C: BF800001
	buffer_store_dwordx4 v[16:19], v199, s[4:7], 0 offen       // 000000006080: E07C1000 800110C7
	v_add_u32_e32 v199, s62, v199                              // 000000006088: 698F8E3E
	v_add_u32_e32 v199, 0x80, v195                             // 00000000608C: 698F86FF 00000080
	v_accvgpr_read_b32 v8, a32                                 // 000000006094: D3D84008 18000120
	v_accvgpr_read_b32 v9, a33                                 // 00000000609C: D3D84009 18000121
	v_accvgpr_read_b32 v10, a34                                // 0000000060A4: D3D8400A 18000122
	v_accvgpr_read_b32 v11, a35                                // 0000000060AC: D3D8400B 18000123
	v_accvgpr_read_b32 v12, a40                                // 0000000060B4: D3D8400C 18000128
	v_accvgpr_read_b32 v13, a41                                // 0000000060BC: D3D8400D 18000129
	v_accvgpr_read_b32 v14, a42                                // 0000000060C4: D3D8400E 1800012A
	v_accvgpr_read_b32 v15, a43                                // 0000000060CC: D3D8400F 1800012B
	v_cvt_pk_bf16_f32 v16, v8, v9                              // 0000000060D4: D2680010 00021308
	v_cvt_pk_bf16_f32 v17, v10, v11                            // 0000000060DC: D2680011 0002170A
	v_cvt_pk_bf16_f32 v18, v12, v13                            // 0000000060E4: D2680012 00021B0C
	v_cvt_pk_bf16_f32 v19, v14, v15                            // 0000000060EC: D2680013 00021F0E
	s_nop 1                                                    // 0000000060F4: BF800001
	v_permlane16_swap_b32_e32 v16, v18                         // 0000000060F8: 7E20B312
	s_nop 1                                                    // 0000000060FC: BF800001
	v_permlane16_swap_b32_e32 v17, v19                         // 000000006100: 7E22B313
	s_nop 1                                                    // 000000006104: BF800001
	buffer_store_dwordx4 v[16:19], v199, s[4:7], 0 offen       // 000000006108: E07C1000 800110C7
	v_add_u32_e32 v199, s62, v199                              // 000000006110: 698F8E3E
	v_accvgpr_read_b32 v8, a36                                 // 000000006114: D3D84008 18000124
	v_accvgpr_read_b32 v9, a37                                 // 00000000611C: D3D84009 18000125
	v_accvgpr_read_b32 v10, a38                                // 000000006124: D3D8400A 18000126
	v_accvgpr_read_b32 v11, a39                                // 00000000612C: D3D8400B 18000127
	v_accvgpr_read_b32 v12, a44                                // 000000006134: D3D8400C 1800012C
	v_accvgpr_read_b32 v13, a45                                // 00000000613C: D3D8400D 1800012D
	v_accvgpr_read_b32 v14, a46                                // 000000006144: D3D8400E 1800012E
	v_accvgpr_read_b32 v15, a47                                // 00000000614C: D3D8400F 1800012F
	v_cvt_pk_bf16_f32 v16, v8, v9                              // 000000006154: D2680010 00021308
	v_cvt_pk_bf16_f32 v17, v10, v11                            // 00000000615C: D2680011 0002170A
	v_cvt_pk_bf16_f32 v18, v12, v13                            // 000000006164: D2680012 00021B0C
	v_cvt_pk_bf16_f32 v19, v14, v15                            // 00000000616C: D2680013 00021F0E
	s_nop 1                                                    // 000000006174: BF800001
	v_permlane16_swap_b32_e32 v16, v18                         // 000000006178: 7E20B312
	s_nop 1                                                    // 00000000617C: BF800001
	v_permlane16_swap_b32_e32 v17, v19                         // 000000006180: 7E22B313
	s_nop 1                                                    // 000000006184: BF800001
	buffer_store_dwordx4 v[16:19], v199, s[4:7], 0 offen       // 000000006188: E07C1000 800110C7
	v_add_u32_e32 v199, s62, v199                              // 000000006190: 698F8E3E
	v_accvgpr_read_b32 v8, a80                                 // 000000006194: D3D84008 18000150
	v_accvgpr_read_b32 v9, a81                                 // 00000000619C: D3D84009 18000151
	v_accvgpr_read_b32 v10, a82                                // 0000000061A4: D3D8400A 18000152
	v_accvgpr_read_b32 v11, a83                                // 0000000061AC: D3D8400B 18000153
	v_accvgpr_read_b32 v12, a88                                // 0000000061B4: D3D8400C 18000158
	v_accvgpr_read_b32 v13, a89                                // 0000000061BC: D3D8400D 18000159
	v_accvgpr_read_b32 v14, a90                                // 0000000061C4: D3D8400E 1800015A
	v_accvgpr_read_b32 v15, a91                                // 0000000061CC: D3D8400F 1800015B
	v_cvt_pk_bf16_f32 v16, v8, v9                              // 0000000061D4: D2680010 00021308
	v_cvt_pk_bf16_f32 v17, v10, v11                            // 0000000061DC: D2680011 0002170A
	v_cvt_pk_bf16_f32 v18, v12, v13                            // 0000000061E4: D2680012 00021B0C
	v_cvt_pk_bf16_f32 v19, v14, v15                            // 0000000061EC: D2680013 00021F0E
	s_nop 1                                                    // 0000000061F4: BF800001
	v_permlane16_swap_b32_e32 v16, v18                         // 0000000061F8: 7E20B312
	s_nop 1                                                    // 0000000061FC: BF800001
	v_permlane16_swap_b32_e32 v17, v19                         // 000000006200: 7E22B313
	s_nop 1                                                    // 000000006204: BF800001
	buffer_store_dwordx4 v[16:19], v199, s[4:7], 0 offen       // 000000006208: E07C1000 800110C7
	v_add_u32_e32 v199, s62, v199                              // 000000006210: 698F8E3E
	v_accvgpr_read_b32 v8, a84                                 // 000000006214: D3D84008 18000154
	v_accvgpr_read_b32 v9, a85                                 // 00000000621C: D3D84009 18000155
	v_accvgpr_read_b32 v10, a86                                // 000000006224: D3D8400A 18000156
	v_accvgpr_read_b32 v11, a87                                // 00000000622C: D3D8400B 18000157
	v_accvgpr_read_b32 v12, a92                                // 000000006234: D3D8400C 1800015C
	v_accvgpr_read_b32 v13, a93                                // 00000000623C: D3D8400D 1800015D
	v_accvgpr_read_b32 v14, a94                                // 000000006244: D3D8400E 1800015E
	v_accvgpr_read_b32 v15, a95                                // 00000000624C: D3D8400F 1800015F
	v_cvt_pk_bf16_f32 v16, v8, v9                              // 000000006254: D2680010 00021308
	v_cvt_pk_bf16_f32 v17, v10, v11                            // 00000000625C: D2680011 0002170A
	v_cvt_pk_bf16_f32 v18, v12, v13                            // 000000006264: D2680012 00021B0C
	v_cvt_pk_bf16_f32 v19, v14, v15                            // 00000000626C: D2680013 00021F0E
	s_nop 1                                                    // 000000006274: BF800001
	v_permlane16_swap_b32_e32 v16, v18                         // 000000006278: 7E20B312
	s_nop 1                                                    // 00000000627C: BF800001
	v_permlane16_swap_b32_e32 v17, v19                         // 000000006280: 7E22B313
	s_nop 1                                                    // 000000006284: BF800001
	buffer_store_dwordx4 v[16:19], v199, s[4:7], 0 offen       // 000000006288: E07C1000 800110C7
	v_add_u32_e32 v199, s62, v199                              // 000000006290: 698F8E3E
	v_accvgpr_read_b32 v8, a128                                // 000000006294: D3D84008 18000180
	v_accvgpr_read_b32 v9, a129                                // 00000000629C: D3D84009 18000181
	v_accvgpr_read_b32 v10, a130                               // 0000000062A4: D3D8400A 18000182
	v_accvgpr_read_b32 v11, a131                               // 0000000062AC: D3D8400B 18000183
	v_accvgpr_read_b32 v12, a136                               // 0000000062B4: D3D8400C 18000188
	v_accvgpr_read_b32 v13, a137                               // 0000000062BC: D3D8400D 18000189
	v_accvgpr_read_b32 v14, a138                               // 0000000062C4: D3D8400E 1800018A
	v_accvgpr_read_b32 v15, a139                               // 0000000062CC: D3D8400F 1800018B
	v_cvt_pk_bf16_f32 v16, v8, v9                              // 0000000062D4: D2680010 00021308
	v_cvt_pk_bf16_f32 v17, v10, v11                            // 0000000062DC: D2680011 0002170A
	v_cvt_pk_bf16_f32 v18, v12, v13                            // 0000000062E4: D2680012 00021B0C
	v_cvt_pk_bf16_f32 v19, v14, v15                            // 0000000062EC: D2680013 00021F0E
	s_nop 1                                                    // 0000000062F4: BF800001
	v_permlane16_swap_b32_e32 v16, v18                         // 0000000062F8: 7E20B312
	s_nop 1                                                    // 0000000062FC: BF800001
	v_permlane16_swap_b32_e32 v17, v19                         // 000000006300: 7E22B313
	s_nop 1                                                    // 000000006304: BF800001
	buffer_store_dwordx4 v[16:19], v199, s[4:7], 0 offen       // 000000006308: E07C1000 800110C7
	v_add_u32_e32 v199, s62, v199                              // 000000006310: 698F8E3E
	v_accvgpr_read_b32 v8, a132                                // 000000006314: D3D84008 18000184
	v_accvgpr_read_b32 v9, a133                                // 00000000631C: D3D84009 18000185
	v_accvgpr_read_b32 v10, a134                               // 000000006324: D3D8400A 18000186
	v_accvgpr_read_b32 v11, a135                               // 00000000632C: D3D8400B 18000187
	v_accvgpr_read_b32 v12, a140                               // 000000006334: D3D8400C 1800018C
	v_accvgpr_read_b32 v13, a141                               // 00000000633C: D3D8400D 1800018D
	v_accvgpr_read_b32 v14, a142                               // 000000006344: D3D8400E 1800018E
	v_accvgpr_read_b32 v15, a143                               // 00000000634C: D3D8400F 1800018F
	v_cvt_pk_bf16_f32 v16, v8, v9                              // 000000006354: D2680010 00021308
	v_cvt_pk_bf16_f32 v17, v10, v11                            // 00000000635C: D2680011 0002170A
	v_cvt_pk_bf16_f32 v18, v12, v13                            // 000000006364: D2680012 00021B0C
	v_cvt_pk_bf16_f32 v19, v14, v15                            // 00000000636C: D2680013 00021F0E
	s_nop 1                                                    // 000000006374: BF800001
	v_permlane16_swap_b32_e32 v16, v18                         // 000000006378: 7E20B312
	s_nop 1                                                    // 00000000637C: BF800001
	v_permlane16_swap_b32_e32 v17, v19                         // 000000006380: 7E22B313
	s_nop 1                                                    // 000000006384: BF800001
	buffer_store_dwordx4 v[16:19], v199, s[4:7], 0 offen       // 000000006388: E07C1000 800110C7
	v_add_u32_e32 v199, s62, v199                              // 000000006390: 698F8E3E
	v_accvgpr_read_b32 v8, a176                                // 000000006394: D3D84008 180001B0
	v_accvgpr_read_b32 v9, a177                                // 00000000639C: D3D84009 180001B1
	v_accvgpr_read_b32 v10, a178                               // 0000000063A4: D3D8400A 180001B2
	v_accvgpr_read_b32 v11, a179                               // 0000000063AC: D3D8400B 180001B3
	v_accvgpr_read_b32 v12, a184                               // 0000000063B4: D3D8400C 180001B8
	v_accvgpr_read_b32 v13, a185                               // 0000000063BC: D3D8400D 180001B9
	v_accvgpr_read_b32 v14, a186                               // 0000000063C4: D3D8400E 180001BA
	v_accvgpr_read_b32 v15, a187                               // 0000000063CC: D3D8400F 180001BB
	v_cvt_pk_bf16_f32 v16, v8, v9                              // 0000000063D4: D2680010 00021308
	v_cvt_pk_bf16_f32 v17, v10, v11                            // 0000000063DC: D2680011 0002170A
	v_cvt_pk_bf16_f32 v18, v12, v13                            // 0000000063E4: D2680012 00021B0C
	v_cvt_pk_bf16_f32 v19, v14, v15                            // 0000000063EC: D2680013 00021F0E
	s_nop 1                                                    // 0000000063F4: BF800001
	v_permlane16_swap_b32_e32 v16, v18                         // 0000000063F8: 7E20B312
	s_nop 1                                                    // 0000000063FC: BF800001
	v_permlane16_swap_b32_e32 v17, v19                         // 000000006400: 7E22B313
	s_nop 1                                                    // 000000006404: BF800001
	buffer_store_dwordx4 v[16:19], v199, s[4:7], 0 offen       // 000000006408: E07C1000 800110C7
	v_add_u32_e32 v199, s62, v199                              // 000000006410: 698F8E3E
	v_accvgpr_read_b32 v8, a180                                // 000000006414: D3D84008 180001B4
	v_accvgpr_read_b32 v9, a181                                // 00000000641C: D3D84009 180001B5
	v_accvgpr_read_b32 v10, a182                               // 000000006424: D3D8400A 180001B6
	v_accvgpr_read_b32 v11, a183                               // 00000000642C: D3D8400B 180001B7
	v_accvgpr_read_b32 v12, a188                               // 000000006434: D3D8400C 180001BC
	v_accvgpr_read_b32 v13, a189                               // 00000000643C: D3D8400D 180001BD
	v_accvgpr_read_b32 v14, a190                               // 000000006444: D3D8400E 180001BE
	v_accvgpr_read_b32 v15, a191                               // 00000000644C: D3D8400F 180001BF
	v_cvt_pk_bf16_f32 v16, v8, v9                              // 000000006454: D2680010 00021308
	v_cvt_pk_bf16_f32 v17, v10, v11                            // 00000000645C: D2680011 0002170A
	v_cvt_pk_bf16_f32 v18, v12, v13                            // 000000006464: D2680012 00021B0C
	v_cvt_pk_bf16_f32 v19, v14, v15                            // 00000000646C: D2680013 00021F0E
	s_nop 1                                                    // 000000006474: BF800001
	v_permlane16_swap_b32_e32 v16, v18                         // 000000006478: 7E20B312
	s_nop 1                                                    // 00000000647C: BF800001
	v_permlane16_swap_b32_e32 v17, v19                         // 000000006480: 7E22B313
	s_nop 1                                                    // 000000006484: BF800001
	buffer_store_dwordx4 v[16:19], v199, s[4:7], 0 offen       // 000000006488: E07C1000 800110C7
	v_add_u32_e32 v199, s62, v199                              // 000000006490: 698F8E3E
	s_branch label_1134                                        // 000000006494: BF82030E

0000000000006498 <label_0E26>:
	s_mul_i32 s62, s36, 16                                     // 000000006498: 923E9024
	s_cmp_lt_i32 s60, s44                                      // 00000000649C: BF042C3C
	s_cbranch_scc0 label_1134                                  // 0000000064A0: BF84030B
	s_addk_i32 s60, 0x20                                       // 0000000064A4: B73C0020
	v_add_u32_e32 v199, 0, v195                                // 0000000064A8: 698F8680
	v_accvgpr_read_b32 v8, a0                                  // 0000000064AC: D3D84008 18000100
	v_accvgpr_read_b32 v9, a1                                  // 0000000064B4: D3D84009 18000101
	v_accvgpr_read_b32 v10, a2                                 // 0000000064BC: D3D8400A 18000102
	v_accvgpr_read_b32 v11, a3                                 // 0000000064C4: D3D8400B 18000103
	v_accvgpr_read_b32 v12, a8                                 // 0000000064CC: D3D8400C 18000108
	v_accvgpr_read_b32 v13, a9                                 // 0000000064D4: D3D8400D 18000109
	v_accvgpr_read_b32 v14, a10                                // 0000000064DC: D3D8400E 1800010A
	v_accvgpr_read_b32 v15, a11                                // 0000000064E4: D3D8400F 1800010B
	v_cvt_pk_bf16_f32 v16, v8, v9                              // 0000000064EC: D2680010 00021308
	v_cvt_pk_bf16_f32 v17, v10, v11                            // 0000000064F4: D2680011 0002170A
	v_cvt_pk_bf16_f32 v18, v12, v13                            // 0000000064FC: D2680012 00021B0C
	v_cvt_pk_bf16_f32 v19, v14, v15                            // 000000006504: D2680013 00021F0E
	s_nop 1                                                    // 00000000650C: BF800001
	v_permlane16_swap_b32_e32 v16, v18                         // 000000006510: 7E20B312
	s_nop 1                                                    // 000000006514: BF800001
	v_permlane16_swap_b32_e32 v17, v19                         // 000000006518: 7E22B313
	s_nop 1                                                    // 00000000651C: BF800001
	buffer_store_dwordx4 v[16:19], v199, s[4:7], 0 offen       // 000000006520: E07C1000 800110C7
	v_add_u32_e32 v199, s62, v199                              // 000000006528: 698F8E3E
	v_accvgpr_read_b32 v8, a4                                  // 00000000652C: D3D84008 18000104
	v_accvgpr_read_b32 v9, a5                                  // 000000006534: D3D84009 18000105
	v_accvgpr_read_b32 v10, a6                                 // 00000000653C: D3D8400A 18000106
	v_accvgpr_read_b32 v11, a7                                 // 000000006544: D3D8400B 18000107
	v_accvgpr_read_b32 v12, a12                                // 00000000654C: D3D8400C 1800010C
	v_accvgpr_read_b32 v13, a13                                // 000000006554: D3D8400D 1800010D
	v_accvgpr_read_b32 v14, a14                                // 00000000655C: D3D8400E 1800010E
	v_accvgpr_read_b32 v15, a15                                // 000000006564: D3D8400F 1800010F
	v_cvt_pk_bf16_f32 v16, v8, v9                              // 00000000656C: D2680010 00021308
	v_cvt_pk_bf16_f32 v17, v10, v11                            // 000000006574: D2680011 0002170A
	v_cvt_pk_bf16_f32 v18, v12, v13                            // 00000000657C: D2680012 00021B0C
	v_cvt_pk_bf16_f32 v19, v14, v15                            // 000000006584: D2680013 00021F0E
	s_nop 1                                                    // 00000000658C: BF800001
	v_permlane16_swap_b32_e32 v16, v18                         // 000000006590: 7E20B312
	s_nop 1                                                    // 000000006594: BF800001
	v_permlane16_swap_b32_e32 v17, v19                         // 000000006598: 7E22B313
	s_nop 1                                                    // 00000000659C: BF800001
	buffer_store_dwordx4 v[16:19], v199, s[4:7], 0 offen       // 0000000065A0: E07C1000 800110C7
	v_add_u32_e32 v199, s62, v199                              // 0000000065A8: 698F8E3E
	v_accvgpr_read_b32 v8, a48                                 // 0000000065AC: D3D84008 18000130
	v_accvgpr_read_b32 v9, a49                                 // 0000000065B4: D3D84009 18000131
	v_accvgpr_read_b32 v10, a50                                // 0000000065BC: D3D8400A 18000132
	v_accvgpr_read_b32 v11, a51                                // 0000000065C4: D3D8400B 18000133
	v_accvgpr_read_b32 v12, a56                                // 0000000065CC: D3D8400C 18000138
	v_accvgpr_read_b32 v13, a57                                // 0000000065D4: D3D8400D 18000139
	v_accvgpr_read_b32 v14, a58                                // 0000000065DC: D3D8400E 1800013A
	v_accvgpr_read_b32 v15, a59                                // 0000000065E4: D3D8400F 1800013B
	v_cvt_pk_bf16_f32 v16, v8, v9                              // 0000000065EC: D2680010 00021308
	v_cvt_pk_bf16_f32 v17, v10, v11                            // 0000000065F4: D2680011 0002170A
	v_cvt_pk_bf16_f32 v18, v12, v13                            // 0000000065FC: D2680012 00021B0C
	v_cvt_pk_bf16_f32 v19, v14, v15                            // 000000006604: D2680013 00021F0E
	s_nop 1                                                    // 00000000660C: BF800001
	v_permlane16_swap_b32_e32 v16, v18                         // 000000006610: 7E20B312
	s_nop 1                                                    // 000000006614: BF800001
	v_permlane16_swap_b32_e32 v17, v19                         // 000000006618: 7E22B313
	s_nop 1                                                    // 00000000661C: BF800001
	buffer_store_dwordx4 v[16:19], v199, s[4:7], 0 offen       // 000000006620: E07C1000 800110C7
	v_add_u32_e32 v199, s62, v199                              // 000000006628: 698F8E3E
	v_accvgpr_read_b32 v8, a52                                 // 00000000662C: D3D84008 18000134
	v_accvgpr_read_b32 v9, a53                                 // 000000006634: D3D84009 18000135
	v_accvgpr_read_b32 v10, a54                                // 00000000663C: D3D8400A 18000136
	v_accvgpr_read_b32 v11, a55                                // 000000006644: D3D8400B 18000137
	v_accvgpr_read_b32 v12, a60                                // 00000000664C: D3D8400C 1800013C
	v_accvgpr_read_b32 v13, a61                                // 000000006654: D3D8400D 1800013D
	v_accvgpr_read_b32 v14, a62                                // 00000000665C: D3D8400E 1800013E
	v_accvgpr_read_b32 v15, a63                                // 000000006664: D3D8400F 1800013F
	v_cvt_pk_bf16_f32 v16, v8, v9                              // 00000000666C: D2680010 00021308
	v_cvt_pk_bf16_f32 v17, v10, v11                            // 000000006674: D2680011 0002170A
	v_cvt_pk_bf16_f32 v18, v12, v13                            // 00000000667C: D2680012 00021B0C
	v_cvt_pk_bf16_f32 v19, v14, v15                            // 000000006684: D2680013 00021F0E
	s_nop 1                                                    // 00000000668C: BF800001
	v_permlane16_swap_b32_e32 v16, v18                         // 000000006690: 7E20B312
	s_nop 1                                                    // 000000006694: BF800001
	v_permlane16_swap_b32_e32 v17, v19                         // 000000006698: 7E22B313
	s_nop 1                                                    // 00000000669C: BF800001
	buffer_store_dwordx4 v[16:19], v199, s[4:7], 0 offen       // 0000000066A0: E07C1000 800110C7
	v_add_u32_e32 v199, s62, v199                              // 0000000066A8: 698F8E3E
	v_accvgpr_read_b32 v8, a96                                 // 0000000066AC: D3D84008 18000160
	v_accvgpr_read_b32 v9, a97                                 // 0000000066B4: D3D84009 18000161
	v_accvgpr_read_b32 v10, a98                                // 0000000066BC: D3D8400A 18000162
	v_accvgpr_read_b32 v11, a99                                // 0000000066C4: D3D8400B 18000163
	v_accvgpr_read_b32 v12, a104                               // 0000000066CC: D3D8400C 18000168
	v_accvgpr_read_b32 v13, a105                               // 0000000066D4: D3D8400D 18000169
	v_accvgpr_read_b32 v14, a106                               // 0000000066DC: D3D8400E 1800016A
	v_accvgpr_read_b32 v15, a107                               // 0000000066E4: D3D8400F 1800016B
	v_cvt_pk_bf16_f32 v16, v8, v9                              // 0000000066EC: D2680010 00021308
	v_cvt_pk_bf16_f32 v17, v10, v11                            // 0000000066F4: D2680011 0002170A
	v_cvt_pk_bf16_f32 v18, v12, v13                            // 0000000066FC: D2680012 00021B0C
	v_cvt_pk_bf16_f32 v19, v14, v15                            // 000000006704: D2680013 00021F0E
	s_nop 1                                                    // 00000000670C: BF800001
	v_permlane16_swap_b32_e32 v16, v18                         // 000000006710: 7E20B312
	s_nop 1                                                    // 000000006714: BF800001
	v_permlane16_swap_b32_e32 v17, v19                         // 000000006718: 7E22B313
	s_nop 1                                                    // 00000000671C: BF800001
	buffer_store_dwordx4 v[16:19], v199, s[4:7], 0 offen       // 000000006720: E07C1000 800110C7
	v_add_u32_e32 v199, s62, v199                              // 000000006728: 698F8E3E
	v_accvgpr_read_b32 v8, a100                                // 00000000672C: D3D84008 18000164
	v_accvgpr_read_b32 v9, a101                                // 000000006734: D3D84009 18000165
	v_accvgpr_read_b32 v10, a102                               // 00000000673C: D3D8400A 18000166
	v_accvgpr_read_b32 v11, a103                               // 000000006744: D3D8400B 18000167
	v_accvgpr_read_b32 v12, a108                               // 00000000674C: D3D8400C 1800016C
	v_accvgpr_read_b32 v13, a109                               // 000000006754: D3D8400D 1800016D
	v_accvgpr_read_b32 v14, a110                               // 00000000675C: D3D8400E 1800016E
	v_accvgpr_read_b32 v15, a111                               // 000000006764: D3D8400F 1800016F
	v_cvt_pk_bf16_f32 v16, v8, v9                              // 00000000676C: D2680010 00021308
	v_cvt_pk_bf16_f32 v17, v10, v11                            // 000000006774: D2680011 0002170A
	v_cvt_pk_bf16_f32 v18, v12, v13                            // 00000000677C: D2680012 00021B0C
	v_cvt_pk_bf16_f32 v19, v14, v15                            // 000000006784: D2680013 00021F0E
	s_nop 1                                                    // 00000000678C: BF800001
	v_permlane16_swap_b32_e32 v16, v18                         // 000000006790: 7E20B312
	s_nop 1                                                    // 000000006794: BF800001
	v_permlane16_swap_b32_e32 v17, v19                         // 000000006798: 7E22B313
	s_nop 1                                                    // 00000000679C: BF800001
	buffer_store_dwordx4 v[16:19], v199, s[4:7], 0 offen       // 0000000067A0: E07C1000 800110C7
	v_add_u32_e32 v199, s62, v199                              // 0000000067A8: 698F8E3E
	v_accvgpr_read_b32 v8, a144                                // 0000000067AC: D3D84008 18000190
	v_accvgpr_read_b32 v9, a145                                // 0000000067B4: D3D84009 18000191
	v_accvgpr_read_b32 v10, a146                               // 0000000067BC: D3D8400A 18000192
	v_accvgpr_read_b32 v11, a147                               // 0000000067C4: D3D8400B 18000193
	v_accvgpr_read_b32 v12, a152                               // 0000000067CC: D3D8400C 18000198
	v_accvgpr_read_b32 v13, a153                               // 0000000067D4: D3D8400D 18000199
	v_accvgpr_read_b32 v14, a154                               // 0000000067DC: D3D8400E 1800019A
	v_accvgpr_read_b32 v15, a155                               // 0000000067E4: D3D8400F 1800019B
	v_cvt_pk_bf16_f32 v16, v8, v9                              // 0000000067EC: D2680010 00021308
	v_cvt_pk_bf16_f32 v17, v10, v11                            // 0000000067F4: D2680011 0002170A
	v_cvt_pk_bf16_f32 v18, v12, v13                            // 0000000067FC: D2680012 00021B0C
	v_cvt_pk_bf16_f32 v19, v14, v15                            // 000000006804: D2680013 00021F0E
	s_nop 1                                                    // 00000000680C: BF800001
	v_permlane16_swap_b32_e32 v16, v18                         // 000000006810: 7E20B312
	s_nop 1                                                    // 000000006814: BF800001
	v_permlane16_swap_b32_e32 v17, v19                         // 000000006818: 7E22B313
	s_nop 1                                                    // 00000000681C: BF800001
	buffer_store_dwordx4 v[16:19], v199, s[4:7], 0 offen       // 000000006820: E07C1000 800110C7
	v_add_u32_e32 v199, s62, v199                              // 000000006828: 698F8E3E
	v_accvgpr_read_b32 v8, a148                                // 00000000682C: D3D84008 18000194
	v_accvgpr_read_b32 v9, a149                                // 000000006834: D3D84009 18000195
	v_accvgpr_read_b32 v10, a150                               // 00000000683C: D3D8400A 18000196
	v_accvgpr_read_b32 v11, a151                               // 000000006844: D3D8400B 18000197
	v_accvgpr_read_b32 v12, a156                               // 00000000684C: D3D8400C 1800019C
	v_accvgpr_read_b32 v13, a157                               // 000000006854: D3D8400D 1800019D
	v_accvgpr_read_b32 v14, a158                               // 00000000685C: D3D8400E 1800019E
	v_accvgpr_read_b32 v15, a159                               // 000000006864: D3D8400F 1800019F
	v_cvt_pk_bf16_f32 v16, v8, v9                              // 00000000686C: D2680010 00021308
	v_cvt_pk_bf16_f32 v17, v10, v11                            // 000000006874: D2680011 0002170A
	v_cvt_pk_bf16_f32 v18, v12, v13                            // 00000000687C: D2680012 00021B0C
	v_cvt_pk_bf16_f32 v19, v14, v15                            // 000000006884: D2680013 00021F0E
	s_nop 1                                                    // 00000000688C: BF800001
	v_permlane16_swap_b32_e32 v16, v18                         // 000000006890: 7E20B312
	s_nop 1                                                    // 000000006894: BF800001
	v_permlane16_swap_b32_e32 v17, v19                         // 000000006898: 7E22B313
	s_nop 1                                                    // 00000000689C: BF800001
	buffer_store_dwordx4 v[16:19], v199, s[4:7], 0 offen       // 0000000068A0: E07C1000 800110C7
	v_add_u32_e32 v199, s62, v199                              // 0000000068A8: 698F8E3E
	s_cmp_lt_i32 s60, s44                                      // 0000000068AC: BF042C3C
	s_cbranch_scc0 label_1134                                  // 0000000068B0: BF840207
	s_addk_i32 s60, 0x20                                       // 0000000068B4: B73C0020
	v_add_u32_e32 v199, 64, v195                               // 0000000068B8: 698F86C0
	v_accvgpr_read_b32 v8, a16                                 // 0000000068BC: D3D84008 18000110
	v_accvgpr_read_b32 v9, a17                                 // 0000000068C4: D3D84009 18000111
	v_accvgpr_read_b32 v10, a18                                // 0000000068CC: D3D8400A 18000112
	v_accvgpr_read_b32 v11, a19                                // 0000000068D4: D3D8400B 18000113
	v_accvgpr_read_b32 v12, a24                                // 0000000068DC: D3D8400C 18000118
	v_accvgpr_read_b32 v13, a25                                // 0000000068E4: D3D8400D 18000119
	v_accvgpr_read_b32 v14, a26                                // 0000000068EC: D3D8400E 1800011A
	v_accvgpr_read_b32 v15, a27                                // 0000000068F4: D3D8400F 1800011B
	v_cvt_pk_bf16_f32 v16, v8, v9                              // 0000000068FC: D2680010 00021308
	v_cvt_pk_bf16_f32 v17, v10, v11                            // 000000006904: D2680011 0002170A
	v_cvt_pk_bf16_f32 v18, v12, v13                            // 00000000690C: D2680012 00021B0C
	v_cvt_pk_bf16_f32 v19, v14, v15                            // 000000006914: D2680013 00021F0E
	s_nop 1                                                    // 00000000691C: BF800001
	v_permlane16_swap_b32_e32 v16, v18                         // 000000006920: 7E20B312
	s_nop 1                                                    // 000000006924: BF800001
	v_permlane16_swap_b32_e32 v17, v19                         // 000000006928: 7E22B313
	s_nop 1                                                    // 00000000692C: BF800001
	buffer_store_dwordx4 v[16:19], v199, s[4:7], 0 offen       // 000000006930: E07C1000 800110C7
	v_add_u32_e32 v199, s62, v199                              // 000000006938: 698F8E3E
	v_accvgpr_read_b32 v8, a20                                 // 00000000693C: D3D84008 18000114
	v_accvgpr_read_b32 v9, a21                                 // 000000006944: D3D84009 18000115
	v_accvgpr_read_b32 v10, a22                                // 00000000694C: D3D8400A 18000116
	v_accvgpr_read_b32 v11, a23                                // 000000006954: D3D8400B 18000117
	v_accvgpr_read_b32 v12, a28                                // 00000000695C: D3D8400C 1800011C
	v_accvgpr_read_b32 v13, a29                                // 000000006964: D3D8400D 1800011D
	v_accvgpr_read_b32 v14, a30                                // 00000000696C: D3D8400E 1800011E
	v_accvgpr_read_b32 v15, a31                                // 000000006974: D3D8400F 1800011F
	v_cvt_pk_bf16_f32 v16, v8, v9                              // 00000000697C: D2680010 00021308
	v_cvt_pk_bf16_f32 v17, v10, v11                            // 000000006984: D2680011 0002170A
	v_cvt_pk_bf16_f32 v18, v12, v13                            // 00000000698C: D2680012 00021B0C
	v_cvt_pk_bf16_f32 v19, v14, v15                            // 000000006994: D2680013 00021F0E
	s_nop 1                                                    // 00000000699C: BF800001
	v_permlane16_swap_b32_e32 v16, v18                         // 0000000069A0: 7E20B312
	s_nop 1                                                    // 0000000069A4: BF800001
	v_permlane16_swap_b32_e32 v17, v19                         // 0000000069A8: 7E22B313
	s_nop 1                                                    // 0000000069AC: BF800001
	buffer_store_dwordx4 v[16:19], v199, s[4:7], 0 offen       // 0000000069B0: E07C1000 800110C7
	v_add_u32_e32 v199, s62, v199                              // 0000000069B8: 698F8E3E
	v_accvgpr_read_b32 v8, a64                                 // 0000000069BC: D3D84008 18000140
	v_accvgpr_read_b32 v9, a65                                 // 0000000069C4: D3D84009 18000141
	v_accvgpr_read_b32 v10, a66                                // 0000000069CC: D3D8400A 18000142
	v_accvgpr_read_b32 v11, a67                                // 0000000069D4: D3D8400B 18000143
	v_accvgpr_read_b32 v12, a72                                // 0000000069DC: D3D8400C 18000148
	v_accvgpr_read_b32 v13, a73                                // 0000000069E4: D3D8400D 18000149
	v_accvgpr_read_b32 v14, a74                                // 0000000069EC: D3D8400E 1800014A
	v_accvgpr_read_b32 v15, a75                                // 0000000069F4: D3D8400F 1800014B
	v_cvt_pk_bf16_f32 v16, v8, v9                              // 0000000069FC: D2680010 00021308
	v_cvt_pk_bf16_f32 v17, v10, v11                            // 000000006A04: D2680011 0002170A
	v_cvt_pk_bf16_f32 v18, v12, v13                            // 000000006A0C: D2680012 00021B0C
	v_cvt_pk_bf16_f32 v19, v14, v15                            // 000000006A14: D2680013 00021F0E
	s_nop 1                                                    // 000000006A1C: BF800001
	v_permlane16_swap_b32_e32 v16, v18                         // 000000006A20: 7E20B312
	s_nop 1                                                    // 000000006A24: BF800001
	v_permlane16_swap_b32_e32 v17, v19                         // 000000006A28: 7E22B313
	s_nop 1                                                    // 000000006A2C: BF800001
	buffer_store_dwordx4 v[16:19], v199, s[4:7], 0 offen       // 000000006A30: E07C1000 800110C7
	v_add_u32_e32 v199, s62, v199                              // 000000006A38: 698F8E3E
	v_accvgpr_read_b32 v8, a68                                 // 000000006A3C: D3D84008 18000144
	v_accvgpr_read_b32 v9, a69                                 // 000000006A44: D3D84009 18000145
	v_accvgpr_read_b32 v10, a70                                // 000000006A4C: D3D8400A 18000146
	v_accvgpr_read_b32 v11, a71                                // 000000006A54: D3D8400B 18000147
	v_accvgpr_read_b32 v12, a76                                // 000000006A5C: D3D8400C 1800014C
	v_accvgpr_read_b32 v13, a77                                // 000000006A64: D3D8400D 1800014D
	v_accvgpr_read_b32 v14, a78                                // 000000006A6C: D3D8400E 1800014E
	v_accvgpr_read_b32 v15, a79                                // 000000006A74: D3D8400F 1800014F
	v_cvt_pk_bf16_f32 v16, v8, v9                              // 000000006A7C: D2680010 00021308
	v_cvt_pk_bf16_f32 v17, v10, v11                            // 000000006A84: D2680011 0002170A
	v_cvt_pk_bf16_f32 v18, v12, v13                            // 000000006A8C: D2680012 00021B0C
	v_cvt_pk_bf16_f32 v19, v14, v15                            // 000000006A94: D2680013 00021F0E
	s_nop 1                                                    // 000000006A9C: BF800001
	v_permlane16_swap_b32_e32 v16, v18                         // 000000006AA0: 7E20B312
	s_nop 1                                                    // 000000006AA4: BF800001
	v_permlane16_swap_b32_e32 v17, v19                         // 000000006AA8: 7E22B313
	s_nop 1                                                    // 000000006AAC: BF800001
	buffer_store_dwordx4 v[16:19], v199, s[4:7], 0 offen       // 000000006AB0: E07C1000 800110C7
	v_add_u32_e32 v199, s62, v199                              // 000000006AB8: 698F8E3E
	v_accvgpr_read_b32 v8, a112                                // 000000006ABC: D3D84008 18000170
	v_accvgpr_read_b32 v9, a113                                // 000000006AC4: D3D84009 18000171
	v_accvgpr_read_b32 v10, a114                               // 000000006ACC: D3D8400A 18000172
	v_accvgpr_read_b32 v11, a115                               // 000000006AD4: D3D8400B 18000173
	v_accvgpr_read_b32 v12, a120                               // 000000006ADC: D3D8400C 18000178
	v_accvgpr_read_b32 v13, a121                               // 000000006AE4: D3D8400D 18000179
	v_accvgpr_read_b32 v14, a122                               // 000000006AEC: D3D8400E 1800017A
	v_accvgpr_read_b32 v15, a123                               // 000000006AF4: D3D8400F 1800017B
	v_cvt_pk_bf16_f32 v16, v8, v9                              // 000000006AFC: D2680010 00021308
	v_cvt_pk_bf16_f32 v17, v10, v11                            // 000000006B04: D2680011 0002170A
	v_cvt_pk_bf16_f32 v18, v12, v13                            // 000000006B0C: D2680012 00021B0C
	v_cvt_pk_bf16_f32 v19, v14, v15                            // 000000006B14: D2680013 00021F0E
	s_nop 1                                                    // 000000006B1C: BF800001
	v_permlane16_swap_b32_e32 v16, v18                         // 000000006B20: 7E20B312
	s_nop 1                                                    // 000000006B24: BF800001
	v_permlane16_swap_b32_e32 v17, v19                         // 000000006B28: 7E22B313
	s_nop 1                                                    // 000000006B2C: BF800001
	buffer_store_dwordx4 v[16:19], v199, s[4:7], 0 offen       // 000000006B30: E07C1000 800110C7
	v_add_u32_e32 v199, s62, v199                              // 000000006B38: 698F8E3E
	v_accvgpr_read_b32 v8, a116                                // 000000006B3C: D3D84008 18000174
	v_accvgpr_read_b32 v9, a117                                // 000000006B44: D3D84009 18000175
	v_accvgpr_read_b32 v10, a118                               // 000000006B4C: D3D8400A 18000176
	v_accvgpr_read_b32 v11, a119                               // 000000006B54: D3D8400B 18000177
	v_accvgpr_read_b32 v12, a124                               // 000000006B5C: D3D8400C 1800017C
	v_accvgpr_read_b32 v13, a125                               // 000000006B64: D3D8400D 1800017D
	v_accvgpr_read_b32 v14, a126                               // 000000006B6C: D3D8400E 1800017E
	v_accvgpr_read_b32 v15, a127                               // 000000006B74: D3D8400F 1800017F
	v_cvt_pk_bf16_f32 v16, v8, v9                              // 000000006B7C: D2680010 00021308
	v_cvt_pk_bf16_f32 v17, v10, v11                            // 000000006B84: D2680011 0002170A
	v_cvt_pk_bf16_f32 v18, v12, v13                            // 000000006B8C: D2680012 00021B0C
	v_cvt_pk_bf16_f32 v19, v14, v15                            // 000000006B94: D2680013 00021F0E
	s_nop 1                                                    // 000000006B9C: BF800001
	v_permlane16_swap_b32_e32 v16, v18                         // 000000006BA0: 7E20B312
	s_nop 1                                                    // 000000006BA4: BF800001
	v_permlane16_swap_b32_e32 v17, v19                         // 000000006BA8: 7E22B313
	s_nop 1                                                    // 000000006BAC: BF800001
	buffer_store_dwordx4 v[16:19], v199, s[4:7], 0 offen       // 000000006BB0: E07C1000 800110C7
	v_add_u32_e32 v199, s62, v199                              // 000000006BB8: 698F8E3E
	v_accvgpr_read_b32 v8, a160                                // 000000006BBC: D3D84008 180001A0
	v_accvgpr_read_b32 v9, a161                                // 000000006BC4: D3D84009 180001A1
	v_accvgpr_read_b32 v10, a162                               // 000000006BCC: D3D8400A 180001A2
	v_accvgpr_read_b32 v11, a163                               // 000000006BD4: D3D8400B 180001A3
	v_accvgpr_read_b32 v12, a168                               // 000000006BDC: D3D8400C 180001A8
	v_accvgpr_read_b32 v13, a169                               // 000000006BE4: D3D8400D 180001A9
	v_accvgpr_read_b32 v14, a170                               // 000000006BEC: D3D8400E 180001AA
	v_accvgpr_read_b32 v15, a171                               // 000000006BF4: D3D8400F 180001AB
	v_cvt_pk_bf16_f32 v16, v8, v9                              // 000000006BFC: D2680010 00021308
	v_cvt_pk_bf16_f32 v17, v10, v11                            // 000000006C04: D2680011 0002170A
	v_cvt_pk_bf16_f32 v18, v12, v13                            // 000000006C0C: D2680012 00021B0C
	v_cvt_pk_bf16_f32 v19, v14, v15                            // 000000006C14: D2680013 00021F0E
	s_nop 1                                                    // 000000006C1C: BF800001
	v_permlane16_swap_b32_e32 v16, v18                         // 000000006C20: 7E20B312
	s_nop 1                                                    // 000000006C24: BF800001
	v_permlane16_swap_b32_e32 v17, v19                         // 000000006C28: 7E22B313
	s_nop 1                                                    // 000000006C2C: BF800001
	buffer_store_dwordx4 v[16:19], v199, s[4:7], 0 offen       // 000000006C30: E07C1000 800110C7
	v_add_u32_e32 v199, s62, v199                              // 000000006C38: 698F8E3E
	v_accvgpr_read_b32 v8, a164                                // 000000006C3C: D3D84008 180001A4
	v_accvgpr_read_b32 v9, a165                                // 000000006C44: D3D84009 180001A5
	v_accvgpr_read_b32 v10, a166                               // 000000006C4C: D3D8400A 180001A6
	v_accvgpr_read_b32 v11, a167                               // 000000006C54: D3D8400B 180001A7
	v_accvgpr_read_b32 v12, a172                               // 000000006C5C: D3D8400C 180001AC
	v_accvgpr_read_b32 v13, a173                               // 000000006C64: D3D8400D 180001AD
	v_accvgpr_read_b32 v14, a174                               // 000000006C6C: D3D8400E 180001AE
	v_accvgpr_read_b32 v15, a175                               // 000000006C74: D3D8400F 180001AF
	v_cvt_pk_bf16_f32 v16, v8, v9                              // 000000006C7C: D2680010 00021308
	v_cvt_pk_bf16_f32 v17, v10, v11                            // 000000006C84: D2680011 0002170A
	v_cvt_pk_bf16_f32 v18, v12, v13                            // 000000006C8C: D2680012 00021B0C
	v_cvt_pk_bf16_f32 v19, v14, v15                            // 000000006C94: D2680013 00021F0E
	s_nop 1                                                    // 000000006C9C: BF800001
	v_permlane16_swap_b32_e32 v16, v18                         // 000000006CA0: 7E20B312
	s_nop 1                                                    // 000000006CA4: BF800001
	v_permlane16_swap_b32_e32 v17, v19                         // 000000006CA8: 7E22B313
	s_nop 1                                                    // 000000006CAC: BF800001
	buffer_store_dwordx4 v[16:19], v199, s[4:7], 0 offen       // 000000006CB0: E07C1000 800110C7
	v_add_u32_e32 v199, s62, v199                              // 000000006CB8: 698F8E3E
	s_cmp_lt_i32 s60, s44                                      // 000000006CBC: BF042C3C
	s_cbranch_scc0 label_1134                                  // 000000006CC0: BF840103
	s_addk_i32 s60, 0x20                                       // 000000006CC4: B73C0020
	v_add_u32_e32 v199, 0x80, v195                             // 000000006CC8: 698F86FF 00000080
	v_accvgpr_read_b32 v8, a32                                 // 000000006CD0: D3D84008 18000120
	v_accvgpr_read_b32 v9, a33                                 // 000000006CD8: D3D84009 18000121
	v_accvgpr_read_b32 v10, a34                                // 000000006CE0: D3D8400A 18000122
	v_accvgpr_read_b32 v11, a35                                // 000000006CE8: D3D8400B 18000123
	v_accvgpr_read_b32 v12, a40                                // 000000006CF0: D3D8400C 18000128
	v_accvgpr_read_b32 v13, a41                                // 000000006CF8: D3D8400D 18000129
	v_accvgpr_read_b32 v14, a42                                // 000000006D00: D3D8400E 1800012A
	v_accvgpr_read_b32 v15, a43                                // 000000006D08: D3D8400F 1800012B
	v_cvt_pk_bf16_f32 v16, v8, v9                              // 000000006D10: D2680010 00021308
	v_cvt_pk_bf16_f32 v17, v10, v11                            // 000000006D18: D2680011 0002170A
	v_cvt_pk_bf16_f32 v18, v12, v13                            // 000000006D20: D2680012 00021B0C
	v_cvt_pk_bf16_f32 v19, v14, v15                            // 000000006D28: D2680013 00021F0E
	s_nop 1                                                    // 000000006D30: BF800001
	v_permlane16_swap_b32_e32 v16, v18                         // 000000006D34: 7E20B312
	s_nop 1                                                    // 000000006D38: BF800001
	v_permlane16_swap_b32_e32 v17, v19                         // 000000006D3C: 7E22B313
	s_nop 1                                                    // 000000006D40: BF800001
	buffer_store_dwordx4 v[16:19], v199, s[4:7], 0 offen       // 000000006D44: E07C1000 800110C7
	v_add_u32_e32 v199, s62, v199                              // 000000006D4C: 698F8E3E
	v_accvgpr_read_b32 v8, a36                                 // 000000006D50: D3D84008 18000124
	v_accvgpr_read_b32 v9, a37                                 // 000000006D58: D3D84009 18000125
	v_accvgpr_read_b32 v10, a38                                // 000000006D60: D3D8400A 18000126
	v_accvgpr_read_b32 v11, a39                                // 000000006D68: D3D8400B 18000127
	v_accvgpr_read_b32 v12, a44                                // 000000006D70: D3D8400C 1800012C
	v_accvgpr_read_b32 v13, a45                                // 000000006D78: D3D8400D 1800012D
	v_accvgpr_read_b32 v14, a46                                // 000000006D80: D3D8400E 1800012E
	v_accvgpr_read_b32 v15, a47                                // 000000006D88: D3D8400F 1800012F
	v_cvt_pk_bf16_f32 v16, v8, v9                              // 000000006D90: D2680010 00021308
	v_cvt_pk_bf16_f32 v17, v10, v11                            // 000000006D98: D2680011 0002170A
	v_cvt_pk_bf16_f32 v18, v12, v13                            // 000000006DA0: D2680012 00021B0C
	v_cvt_pk_bf16_f32 v19, v14, v15                            // 000000006DA8: D2680013 00021F0E
	s_nop 1                                                    // 000000006DB0: BF800001
	v_permlane16_swap_b32_e32 v16, v18                         // 000000006DB4: 7E20B312
	s_nop 1                                                    // 000000006DB8: BF800001
	v_permlane16_swap_b32_e32 v17, v19                         // 000000006DBC: 7E22B313
	s_nop 1                                                    // 000000006DC0: BF800001
	buffer_store_dwordx4 v[16:19], v199, s[4:7], 0 offen       // 000000006DC4: E07C1000 800110C7
	v_add_u32_e32 v199, s62, v199                              // 000000006DCC: 698F8E3E
	v_accvgpr_read_b32 v8, a80                                 // 000000006DD0: D3D84008 18000150
	v_accvgpr_read_b32 v9, a81                                 // 000000006DD8: D3D84009 18000151
	v_accvgpr_read_b32 v10, a82                                // 000000006DE0: D3D8400A 18000152
	v_accvgpr_read_b32 v11, a83                                // 000000006DE8: D3D8400B 18000153
	v_accvgpr_read_b32 v12, a88                                // 000000006DF0: D3D8400C 18000158
	v_accvgpr_read_b32 v13, a89                                // 000000006DF8: D3D8400D 18000159
	v_accvgpr_read_b32 v14, a90                                // 000000006E00: D3D8400E 1800015A
	v_accvgpr_read_b32 v15, a91                                // 000000006E08: D3D8400F 1800015B
	v_cvt_pk_bf16_f32 v16, v8, v9                              // 000000006E10: D2680010 00021308
	v_cvt_pk_bf16_f32 v17, v10, v11                            // 000000006E18: D2680011 0002170A
	v_cvt_pk_bf16_f32 v18, v12, v13                            // 000000006E20: D2680012 00021B0C
	v_cvt_pk_bf16_f32 v19, v14, v15                            // 000000006E28: D2680013 00021F0E
	s_nop 1                                                    // 000000006E30: BF800001
	v_permlane16_swap_b32_e32 v16, v18                         // 000000006E34: 7E20B312
	s_nop 1                                                    // 000000006E38: BF800001
	v_permlane16_swap_b32_e32 v17, v19                         // 000000006E3C: 7E22B313
	s_nop 1                                                    // 000000006E40: BF800001
	buffer_store_dwordx4 v[16:19], v199, s[4:7], 0 offen       // 000000006E44: E07C1000 800110C7
	v_add_u32_e32 v199, s62, v199                              // 000000006E4C: 698F8E3E
	v_accvgpr_read_b32 v8, a84                                 // 000000006E50: D3D84008 18000154
	v_accvgpr_read_b32 v9, a85                                 // 000000006E58: D3D84009 18000155
	v_accvgpr_read_b32 v10, a86                                // 000000006E60: D3D8400A 18000156
	v_accvgpr_read_b32 v11, a87                                // 000000006E68: D3D8400B 18000157
	v_accvgpr_read_b32 v12, a92                                // 000000006E70: D3D8400C 1800015C
	v_accvgpr_read_b32 v13, a93                                // 000000006E78: D3D8400D 1800015D
	v_accvgpr_read_b32 v14, a94                                // 000000006E80: D3D8400E 1800015E
	v_accvgpr_read_b32 v15, a95                                // 000000006E88: D3D8400F 1800015F
	v_cvt_pk_bf16_f32 v16, v8, v9                              // 000000006E90: D2680010 00021308
	v_cvt_pk_bf16_f32 v17, v10, v11                            // 000000006E98: D2680011 0002170A
	v_cvt_pk_bf16_f32 v18, v12, v13                            // 000000006EA0: D2680012 00021B0C
	v_cvt_pk_bf16_f32 v19, v14, v15                            // 000000006EA8: D2680013 00021F0E
	s_nop 1                                                    // 000000006EB0: BF800001
	v_permlane16_swap_b32_e32 v16, v18                         // 000000006EB4: 7E20B312
	s_nop 1                                                    // 000000006EB8: BF800001
	v_permlane16_swap_b32_e32 v17, v19                         // 000000006EBC: 7E22B313
	s_nop 1                                                    // 000000006EC0: BF800001
	buffer_store_dwordx4 v[16:19], v199, s[4:7], 0 offen       // 000000006EC4: E07C1000 800110C7
	v_add_u32_e32 v199, s62, v199                              // 000000006ECC: 698F8E3E
	v_accvgpr_read_b32 v8, a128                                // 000000006ED0: D3D84008 18000180
	v_accvgpr_read_b32 v9, a129                                // 000000006ED8: D3D84009 18000181
	v_accvgpr_read_b32 v10, a130                               // 000000006EE0: D3D8400A 18000182
	v_accvgpr_read_b32 v11, a131                               // 000000006EE8: D3D8400B 18000183
	v_accvgpr_read_b32 v12, a136                               // 000000006EF0: D3D8400C 18000188
	v_accvgpr_read_b32 v13, a137                               // 000000006EF8: D3D8400D 18000189
	v_accvgpr_read_b32 v14, a138                               // 000000006F00: D3D8400E 1800018A
	v_accvgpr_read_b32 v15, a139                               // 000000006F08: D3D8400F 1800018B
	v_cvt_pk_bf16_f32 v16, v8, v9                              // 000000006F10: D2680010 00021308
	v_cvt_pk_bf16_f32 v17, v10, v11                            // 000000006F18: D2680011 0002170A
	v_cvt_pk_bf16_f32 v18, v12, v13                            // 000000006F20: D2680012 00021B0C
	v_cvt_pk_bf16_f32 v19, v14, v15                            // 000000006F28: D2680013 00021F0E
	s_nop 1                                                    // 000000006F30: BF800001
	v_permlane16_swap_b32_e32 v16, v18                         // 000000006F34: 7E20B312
	s_nop 1                                                    // 000000006F38: BF800001
	v_permlane16_swap_b32_e32 v17, v19                         // 000000006F3C: 7E22B313
	s_nop 1                                                    // 000000006F40: BF800001
	buffer_store_dwordx4 v[16:19], v199, s[4:7], 0 offen       // 000000006F44: E07C1000 800110C7
	v_add_u32_e32 v199, s62, v199                              // 000000006F4C: 698F8E3E
	v_accvgpr_read_b32 v8, a132                                // 000000006F50: D3D84008 18000184
	v_accvgpr_read_b32 v9, a133                                // 000000006F58: D3D84009 18000185
	v_accvgpr_read_b32 v10, a134                               // 000000006F60: D3D8400A 18000186
	v_accvgpr_read_b32 v11, a135                               // 000000006F68: D3D8400B 18000187
	v_accvgpr_read_b32 v12, a140                               // 000000006F70: D3D8400C 1800018C
	v_accvgpr_read_b32 v13, a141                               // 000000006F78: D3D8400D 1800018D
	v_accvgpr_read_b32 v14, a142                               // 000000006F80: D3D8400E 1800018E
	v_accvgpr_read_b32 v15, a143                               // 000000006F88: D3D8400F 1800018F
	v_cvt_pk_bf16_f32 v16, v8, v9                              // 000000006F90: D2680010 00021308
	v_cvt_pk_bf16_f32 v17, v10, v11                            // 000000006F98: D2680011 0002170A
	v_cvt_pk_bf16_f32 v18, v12, v13                            // 000000006FA0: D2680012 00021B0C
	v_cvt_pk_bf16_f32 v19, v14, v15                            // 000000006FA8: D2680013 00021F0E
	s_nop 1                                                    // 000000006FB0: BF800001
	v_permlane16_swap_b32_e32 v16, v18                         // 000000006FB4: 7E20B312
	s_nop 1                                                    // 000000006FB8: BF800001
	v_permlane16_swap_b32_e32 v17, v19                         // 000000006FBC: 7E22B313
	s_nop 1                                                    // 000000006FC0: BF800001
	buffer_store_dwordx4 v[16:19], v199, s[4:7], 0 offen       // 000000006FC4: E07C1000 800110C7
	v_add_u32_e32 v199, s62, v199                              // 000000006FCC: 698F8E3E
	v_accvgpr_read_b32 v8, a176                                // 000000006FD0: D3D84008 180001B0
	v_accvgpr_read_b32 v9, a177                                // 000000006FD8: D3D84009 180001B1
	v_accvgpr_read_b32 v10, a178                               // 000000006FE0: D3D8400A 180001B2
	v_accvgpr_read_b32 v11, a179                               // 000000006FE8: D3D8400B 180001B3
	v_accvgpr_read_b32 v12, a184                               // 000000006FF0: D3D8400C 180001B8
	v_accvgpr_read_b32 v13, a185                               // 000000006FF8: D3D8400D 180001B9
	v_accvgpr_read_b32 v14, a186                               // 000000007000: D3D8400E 180001BA
	v_accvgpr_read_b32 v15, a187                               // 000000007008: D3D8400F 180001BB
	v_cvt_pk_bf16_f32 v16, v8, v9                              // 000000007010: D2680010 00021308
	v_cvt_pk_bf16_f32 v17, v10, v11                            // 000000007018: D2680011 0002170A
	v_cvt_pk_bf16_f32 v18, v12, v13                            // 000000007020: D2680012 00021B0C
	v_cvt_pk_bf16_f32 v19, v14, v15                            // 000000007028: D2680013 00021F0E
	s_nop 1                                                    // 000000007030: BF800001
	v_permlane16_swap_b32_e32 v16, v18                         // 000000007034: 7E20B312
	s_nop 1                                                    // 000000007038: BF800001
	v_permlane16_swap_b32_e32 v17, v19                         // 00000000703C: 7E22B313
	s_nop 1                                                    // 000000007040: BF800001
	buffer_store_dwordx4 v[16:19], v199, s[4:7], 0 offen       // 000000007044: E07C1000 800110C7
	v_add_u32_e32 v199, s62, v199                              // 00000000704C: 698F8E3E
	v_accvgpr_read_b32 v8, a180                                // 000000007050: D3D84008 180001B4
	v_accvgpr_read_b32 v9, a181                                // 000000007058: D3D84009 180001B5
	v_accvgpr_read_b32 v10, a182                               // 000000007060: D3D8400A 180001B6
	v_accvgpr_read_b32 v11, a183                               // 000000007068: D3D8400B 180001B7
	v_accvgpr_read_b32 v12, a188                               // 000000007070: D3D8400C 180001BC
	v_accvgpr_read_b32 v13, a189                               // 000000007078: D3D8400D 180001BD
	v_accvgpr_read_b32 v14, a190                               // 000000007080: D3D8400E 180001BE
	v_accvgpr_read_b32 v15, a191                               // 000000007088: D3D8400F 180001BF
	v_cvt_pk_bf16_f32 v16, v8, v9                              // 000000007090: D2680010 00021308
	v_cvt_pk_bf16_f32 v17, v10, v11                            // 000000007098: D2680011 0002170A
	v_cvt_pk_bf16_f32 v18, v12, v13                            // 0000000070A0: D2680012 00021B0C
	v_cvt_pk_bf16_f32 v19, v14, v15                            // 0000000070A8: D2680013 00021F0E
	s_nop 1                                                    // 0000000070B0: BF800001
	v_permlane16_swap_b32_e32 v16, v18                         // 0000000070B4: 7E20B312
	s_nop 1                                                    // 0000000070B8: BF800001
	v_permlane16_swap_b32_e32 v17, v19                         // 0000000070BC: 7E22B313
	s_nop 1                                                    // 0000000070C0: BF800001
	buffer_store_dwordx4 v[16:19], v199, s[4:7], 0 offen       // 0000000070C4: E07C1000 800110C7
	v_add_u32_e32 v199, s62, v199                              // 0000000070CC: 698F8E3E

00000000000070d0 <label_1134>:
	s_waitcnt vmcnt(0) expcnt(0) lgkmcnt(0)                    // 0000000070D0: BF8C0000
	s_endpgm                                                   // 0000000070D4: BF810000
